;; amdgpu-corpus repo=ROCm/aiter kind=harvested arch=n/a opt=n/a

/root/src/amdgpu-assembly/repos/ROCm__aiter/hsa/gfx950/fmoe_2stages/fmoe_stage1_bf16_pertokenFp8_blockscale_g1u1_48x512_pf3.co:	file format elf64-amdgpu

Disassembly of section .text:

0000000000002a00 <_ZN5aiter55fmoe_stage1_bf16_pertokenFp8_blockscale_g1u1_48x512_pf3E>:
	s_and_b32 s1, s1, 0xffff                                   // 000000002A00: 8601FF01 0000FFFF
	s_load_dwordx2 s[8:9], s[0:1], 0x0                         // 000000002A08: C0060200 00000000
	s_load_dwordx2 s[20:21], s[0:1], 0x10                      // 000000002A10: C0060500 00000010
	s_load_dwordx2 s[24:25], s[0:1], 0x20                      // 000000002A18: C0060600 00000020
	s_load_dwordx2 s[48:49], s[0:1], 0x30                      // 000000002A20: C0060C00 00000030
	s_load_dwordx2 s[28:29], s[0:1], 0x40                      // 000000002A28: C0060700 00000040
	s_load_dwordx2 s[32:33], s[0:1], 0x50                      // 000000002A30: C0060800 00000050
	s_load_dwordx2 s[36:37], s[0:1], 0x60                      // 000000002A38: C0060900 00000060
	s_load_dwordx2 s[12:13], s[0:1], 0x70                      // 000000002A40: C0060300 00000070
	s_load_dwordx2 s[44:45], s[0:1], 0x80                      // 000000002A48: C0060B00 00000080
	s_mov_b32 s89, 0                                           // 000000002A50: BED90080
	s_load_dword s64, s[0:1], 0x90                             // 000000002A54: C0021000 00000090
	s_load_dword s65, s[0:1], 0xa0                             // 000000002A5C: C0021040 000000A0
	s_load_dword s66, s[0:1], 0xb0                             // 000000002A64: C0021080 000000B0
	s_load_dword s67, s[0:1], 0xc0                             // 000000002A6C: C00210C0 000000C0
	s_load_dword s68, s[0:1], 0xd0                             // 000000002A74: C0021100 000000D0
	s_load_dword s69, s[0:1], 0xe0                             // 000000002A7C: C0021140 000000E0
	s_load_dword s71, s[0:1], 0xf0                             // 000000002A84: C00211C0 000000F0
	s_load_dword s72, s[0:1], 0x100                            // 000000002A8C: C0021200 00000100
	s_load_dword s74, s[0:1], 0x110                            // 000000002A94: C0021280 00000110
	s_load_dword s76, s[0:1], 0x120                            // 000000002A9C: C0021300 00000120
	s_load_dword s56, s[0:1], 0x130                            // 000000002AA4: C0020E00 00000130
	s_load_dword s88, s[0:1], 0x140                            // 000000002AAC: C0021600 00000140
	s_load_dword s89, s[0:1], 0x150                            // 000000002AB4: C0021640 00000150
	v_lshrrev_b32_e32 v1, 10, v0                               // 000000002ABC: 2002008A
	v_lshrrev_b32_e32 v2, 10, v1                               // 000000002AC0: 2004028A
	v_and_b32_e32 v2, 0x3ff, v2                                // 000000002AC4: 260404FF 000003FF
	v_and_b32_e32 v1, 0x3ff, v1                                // 000000002ACC: 260202FF 000003FF
	v_and_b32_e32 v0, 0x3ff, v0                                // 000000002AD4: 260000FF 000003FF
	v_lshrrev_b32_e32 v3, 6, v0                                // 000000002ADC: 20060086
	v_and_b32_e32 v0, 63, v0                                   // 000000002AE0: 260000BF
	s_mov_b32 s2, s2                                           // 000000002AE4: BE820002
	s_mov_b32 s3, s3                                           // 000000002AE8: BE830003
	s_mov_b32 s4, s4                                           // 000000002AEC: BE840004
	v_readfirstlane_b32 s7, v3                                 // 000000002AF0: 7E0E0503
	s_waitcnt lgkmcnt(0)                                       // 000000002AF4: BF8CC07F
	s_and_b32 s49, s49, 0xffff                                 // 000000002AF8: 8631FF31 0000FFFF
	s_load_dword s48, s[48:49], 0x0                            // 000000002B00: C0020C18 00000000
	s_and_b32 s45, s45, 0xffff                                 // 000000002B08: 862DFF2D 0000FFFF
	s_and_b32 s9, s9, 0xffff                                   // 000000002B10: 8609FF09 0000FFFF
	s_mul_i32 s60, s66, s68                                    // 000000002B18: 923C4442
	s_mul_i32 s61, s66, 4                                      // 000000002B1C: 923D8442
	s_mov_b32 s22, s60                                         // 000000002B20: BE96003C
	s_mov_b32 s26, -16                                         // 000000002B24: BE9A00D0
	s_mov_b32 s30, s61                                         // 000000002B28: BE9E003D
	s_mov_b32 s14, 0xc0                                        // 000000002B2C: BE8E00FF 000000C0
	s_mov_b32 s38, -16                                         // 000000002B34: BEA600D0
	s_mov_b32 s10, -16                                         // 000000002B38: BE8A00D0
	s_lshr_b32 s60, s64, 7                                     // 000000002B3C: 8F3C8740
	s_mul_i32 s61, s60, 4                                      // 000000002B40: 923D843C
	s_lshr_b32 s60, s65, 7                                     // 000000002B44: 8F3C8741
	s_add_u32 s60, s60, 4                                      // 000000002B48: 803C843C
	s_mul_i32 s60, s60, s61                                    // 000000002B4C: 923C3D3C
	s_mov_b32 s34, s60                                         // 000000002B50: BEA2003C
	s_mov_b32 s23, 0x20000                                     // 000000002B54: BE9700FF 00020000
	s_mov_b32 s27, 0x20000                                     // 000000002B5C: BE9B00FF 00020000
	s_mov_b32 s31, 0x20000                                     // 000000002B64: BE9F00FF 00020000
	s_mov_b32 s35, 0x20000                                     // 000000002B6C: BEA300FF 00020000
	s_mov_b32 s15, 0x20000                                     // 000000002B74: BE8F00FF 00020000
	s_mov_b32 s39, 0x20000                                     // 000000002B7C: BEA700FF 00020000
	s_mov_b32 s11, 0x20000                                     // 000000002B84: BE8B00FF 00020000
	s_and_b32 s21, s21, 0xffff                                 // 000000002B8C: 8615FF15 0000FFFF
	s_and_b32 s25, s25, 0xffff                                 // 000000002B94: 8619FF19 0000FFFF
	s_and_b32 s29, s29, 0xffff                                 // 000000002B9C: 861DFF1D 0000FFFF
	s_and_b32 s33, s33, 0xffff                                 // 000000002BA4: 8621FF21 0000FFFF
	s_and_b32 s13, s13, 0xffff                                 // 000000002BAC: 860DFF0D 0000FFFF
	s_and_b32 s37, s37, 0xffff                                 // 000000002BB4: 8625FF25 0000FFFF
	s_or_b32 s21, s21, 0x40000                                 // 000000002BBC: 8715FF15 00040000
	s_or_b32 s25, s25, 0x40000                                 // 000000002BC4: 8719FF19 00040000
	s_or_b32 s29, s29, 0x40000                                 // 000000002BCC: 871DFF1D 00040000
	s_or_b32 s33, s33, 0x40000                                 // 000000002BD4: 8721FF21 00040000
	s_or_b32 s13, s13, 0x40000                                 // 000000002BDC: 870DFF0D 00040000
	s_or_b32 s37, s37, 0x40000                                 // 000000002BE4: 8725FF25 00040000
	v_accvgpr_write_b32 a239, 0                                // 000000002BEC: D3D940EF 18000080
	v_mov_b32_e32 v247, 0                                      // 000000002BF4: 7FEE0280
	s_waitcnt lgkmcnt(0)                                       // 000000002BF8: BF8CC07F
	s_mul_i32 s60, s3, 48                                      // 000000002BFC: 923CB003
	s_cmp_lt_i32 s60, s48                                      // 000000002C00: BF04303C
	s_cbranch_scc0 label_553E                                  // 000000002C04: BF8454B9
	s_mov_b32 s80, 0                                           // 000000002C08: BED00080
	s_lshr_b32 s81, s64, s88                                   // 000000002C0C: 8F515840
	s_mul_i32 s60, s3, 4                                       // 000000002C10: 923C8403
	s_add_u32 s44, s60, s44                                    // 000000002C14: 802C2C3C
	s_addc_u32 s45, 0, s45                                     // 000000002C18: 822D2D80
	s_load_dword s5, s[44:45], 0x0                             // 000000002C1C: C0020156 00000000
	s_mul_i32 s60, s3, 48                                      // 000000002C24: 923CB003
	s_mul_i32 s60, 4, s60                                      // 000000002C28: 923C3C84
	s_add_u32 s12, s60, s12                                    // 000000002C2C: 800C0C3C
	s_addc_u32 s13, 0, s13                                     // 000000002C30: 820D0D80
	v_and_b32_e32 v4, 15, v0                                   // 000000002C34: 2608008F
	v_lshlrev_b32_e32 v4, 2, v4                                // 000000002C38: 24080882
	buffer_load_dword v30, v4, s[12:15], 0 offen               // 000000002C3C: E0501000 80031E04
	v_add_u32_e32 v4, 64, v4                                   // 000000002C44: 680808C0
	buffer_load_dword v31, v4, s[12:15], 0 offen               // 000000002C48: E0501000 80031F04
	v_add_u32_e32 v4, 64, v4                                   // 000000002C50: 680808C0
	buffer_load_dword v32, v4, s[12:15], 0 offen               // 000000002C54: E0501000 80032004
	v_add_u32_e32 v4, 64, v4                                   // 000000002C5C: 680808C0
	s_mul_i32 s60, 4, s7                                       // 000000002C60: 923C0784
	v_lshlrev_b32_e32 v4, 4, v0                                // 000000002C64: 24080084
	v_add_u32_e32 v4, s60, v4                                  // 000000002C68: 6808083C
	buffer_load_dword v3, v4, s[12:15], 0 offen                // 000000002C6C: E0501000 80030304
	v_mov_b32_e32 v56, 0                                       // 000000002C74: 7E700280
	v_mov_b32_e32 v152, 0                                      // 000000002C78: 7F300280
	v_mov_b32_e32 v57, 0                                       // 000000002C7C: 7E720280
	v_mov_b32_e32 v153, 0                                      // 000000002C80: 7F320280
	v_mov_b32_e32 v58, 0                                       // 000000002C84: 7E740280
	v_mov_b32_e32 v154, 0                                      // 000000002C88: 7F340280
	v_mov_b32_e32 v59, 0                                       // 000000002C8C: 7E760280
	v_mov_b32_e32 v155, 0                                      // 000000002C90: 7F360280
	v_mov_b32_e32 v60, 0                                       // 000000002C94: 7E780280
	v_mov_b32_e32 v156, 0                                      // 000000002C98: 7F380280
	v_mov_b32_e32 v61, 0                                       // 000000002C9C: 7E7A0280
	v_mov_b32_e32 v157, 0                                      // 000000002CA0: 7F3A0280
	v_mov_b32_e32 v62, 0                                       // 000000002CA4: 7E7C0280
	v_mov_b32_e32 v158, 0                                      // 000000002CA8: 7F3C0280
	v_mov_b32_e32 v63, 0                                       // 000000002CAC: 7E7E0280
	v_mov_b32_e32 v159, 0                                      // 000000002CB0: 7F3E0280
	v_mov_b32_e32 v64, 0                                       // 000000002CB4: 7E800280
	v_mov_b32_e32 v160, 0                                      // 000000002CB8: 7F400280
	v_mov_b32_e32 v65, 0                                       // 000000002CBC: 7E820280
	v_mov_b32_e32 v161, 0                                      // 000000002CC0: 7F420280
	v_mov_b32_e32 v66, 0                                       // 000000002CC4: 7E840280
	v_mov_b32_e32 v162, 0                                      // 000000002CC8: 7F440280
	v_mov_b32_e32 v67, 0                                       // 000000002CCC: 7E860280
	v_mov_b32_e32 v163, 0                                      // 000000002CD0: 7F460280
	v_mov_b32_e32 v68, 0                                       // 000000002CD4: 7E880280
	v_mov_b32_e32 v164, 0                                      // 000000002CD8: 7F480280
	v_mov_b32_e32 v69, 0                                       // 000000002CDC: 7E8A0280
	v_mov_b32_e32 v165, 0                                      // 000000002CE0: 7F4A0280
	v_mov_b32_e32 v70, 0                                       // 000000002CE4: 7E8C0280
	v_mov_b32_e32 v166, 0                                      // 000000002CE8: 7F4C0280
	v_mov_b32_e32 v71, 0                                       // 000000002CEC: 7E8E0280
	v_mov_b32_e32 v167, 0                                      // 000000002CF0: 7F4E0280
	v_mov_b32_e32 v72, 0                                       // 000000002CF4: 7E900280
	v_mov_b32_e32 v168, 0                                      // 000000002CF8: 7F500280
	v_mov_b32_e32 v73, 0                                       // 000000002CFC: 7E920280
	v_mov_b32_e32 v169, 0                                      // 000000002D00: 7F520280
	v_mov_b32_e32 v74, 0                                       // 000000002D04: 7E940280
	v_mov_b32_e32 v170, 0                                      // 000000002D08: 7F540280
	v_mov_b32_e32 v75, 0                                       // 000000002D0C: 7E960280
	v_mov_b32_e32 v171, 0                                      // 000000002D10: 7F560280
	v_mov_b32_e32 v76, 0                                       // 000000002D14: 7E980280
	v_mov_b32_e32 v172, 0                                      // 000000002D18: 7F580280
	v_mov_b32_e32 v77, 0                                       // 000000002D1C: 7E9A0280
	v_mov_b32_e32 v173, 0                                      // 000000002D20: 7F5A0280
	v_mov_b32_e32 v78, 0                                       // 000000002D24: 7E9C0280
	v_mov_b32_e32 v174, 0                                      // 000000002D28: 7F5C0280
	v_mov_b32_e32 v79, 0                                       // 000000002D2C: 7E9E0280
	v_mov_b32_e32 v175, 0                                      // 000000002D30: 7F5E0280
	v_mov_b32_e32 v80, 0                                       // 000000002D34: 7EA00280
	v_mov_b32_e32 v176, 0                                      // 000000002D38: 7F600280
	v_mov_b32_e32 v81, 0                                       // 000000002D3C: 7EA20280
	v_mov_b32_e32 v177, 0                                      // 000000002D40: 7F620280
	v_mov_b32_e32 v82, 0                                       // 000000002D44: 7EA40280
	v_mov_b32_e32 v178, 0                                      // 000000002D48: 7F640280
	v_mov_b32_e32 v83, 0                                       // 000000002D4C: 7EA60280
	v_mov_b32_e32 v179, 0                                      // 000000002D50: 7F660280
	v_mov_b32_e32 v84, 0                                       // 000000002D54: 7EA80280
	v_mov_b32_e32 v180, 0                                      // 000000002D58: 7F680280
	v_mov_b32_e32 v85, 0                                       // 000000002D5C: 7EAA0280
	v_mov_b32_e32 v181, 0                                      // 000000002D60: 7F6A0280
	v_mov_b32_e32 v86, 0                                       // 000000002D64: 7EAC0280
	v_mov_b32_e32 v182, 0                                      // 000000002D68: 7F6C0280
	v_mov_b32_e32 v87, 0                                       // 000000002D6C: 7EAE0280
	v_mov_b32_e32 v183, 0                                      // 000000002D70: 7F6E0280
	v_mov_b32_e32 v88, 0                                       // 000000002D74: 7EB00280
	v_mov_b32_e32 v184, 0                                      // 000000002D78: 7F700280
	v_mov_b32_e32 v89, 0                                       // 000000002D7C: 7EB20280
	v_mov_b32_e32 v185, 0                                      // 000000002D80: 7F720280
	v_mov_b32_e32 v90, 0                                       // 000000002D84: 7EB40280
	v_mov_b32_e32 v186, 0                                      // 000000002D88: 7F740280
	v_mov_b32_e32 v91, 0                                       // 000000002D8C: 7EB60280
	v_mov_b32_e32 v187, 0                                      // 000000002D90: 7F760280
	v_mov_b32_e32 v92, 0                                       // 000000002D94: 7EB80280
	v_mov_b32_e32 v188, 0                                      // 000000002D98: 7F780280
	v_mov_b32_e32 v93, 0                                       // 000000002D9C: 7EBA0280
	v_mov_b32_e32 v189, 0                                      // 000000002DA0: 7F7A0280
	v_mov_b32_e32 v94, 0                                       // 000000002DA4: 7EBC0280
	v_mov_b32_e32 v190, 0                                      // 000000002DA8: 7F7C0280
	v_mov_b32_e32 v95, 0                                       // 000000002DAC: 7EBE0280
	v_mov_b32_e32 v191, 0                                      // 000000002DB0: 7F7E0280
	v_mov_b32_e32 v96, 0                                       // 000000002DB4: 7EC00280
	v_mov_b32_e32 v192, 0                                      // 000000002DB8: 7F800280
	v_mov_b32_e32 v97, 0                                       // 000000002DBC: 7EC20280
	v_mov_b32_e32 v193, 0                                      // 000000002DC0: 7F820280
	v_mov_b32_e32 v98, 0                                       // 000000002DC4: 7EC40280
	v_mov_b32_e32 v194, 0                                      // 000000002DC8: 7F840280
	v_mov_b32_e32 v99, 0                                       // 000000002DCC: 7EC60280
	v_mov_b32_e32 v195, 0                                      // 000000002DD0: 7F860280
	v_mov_b32_e32 v100, 0                                      // 000000002DD4: 7EC80280
	v_mov_b32_e32 v196, 0                                      // 000000002DD8: 7F880280
	v_mov_b32_e32 v101, 0                                      // 000000002DDC: 7ECA0280
	v_mov_b32_e32 v197, 0                                      // 000000002DE0: 7F8A0280
	v_mov_b32_e32 v102, 0                                      // 000000002DE4: 7ECC0280
	v_mov_b32_e32 v198, 0                                      // 000000002DE8: 7F8C0280
	v_mov_b32_e32 v103, 0                                      // 000000002DEC: 7ECE0280
	v_mov_b32_e32 v199, 0                                      // 000000002DF0: 7F8E0280
	v_mov_b32_e32 v104, 0                                      // 000000002DF4: 7ED00280
	v_mov_b32_e32 v200, 0                                      // 000000002DF8: 7F900280
	v_mov_b32_e32 v105, 0                                      // 000000002DFC: 7ED20280
	v_mov_b32_e32 v201, 0                                      // 000000002E00: 7F920280
	v_mov_b32_e32 v106, 0                                      // 000000002E04: 7ED40280
	v_mov_b32_e32 v202, 0                                      // 000000002E08: 7F940280
	v_mov_b32_e32 v107, 0                                      // 000000002E0C: 7ED60280
	v_mov_b32_e32 v203, 0                                      // 000000002E10: 7F960280
	v_mov_b32_e32 v108, 0                                      // 000000002E14: 7ED80280
	v_mov_b32_e32 v204, 0                                      // 000000002E18: 7F980280
	v_mov_b32_e32 v109, 0                                      // 000000002E1C: 7EDA0280
	v_mov_b32_e32 v205, 0                                      // 000000002E20: 7F9A0280
	v_mov_b32_e32 v110, 0                                      // 000000002E24: 7EDC0280
	v_mov_b32_e32 v206, 0                                      // 000000002E28: 7F9C0280
	v_mov_b32_e32 v111, 0                                      // 000000002E2C: 7EDE0280
	v_mov_b32_e32 v207, 0                                      // 000000002E30: 7F9E0280
	v_mov_b32_e32 v112, 0                                      // 000000002E34: 7EE00280
	v_mov_b32_e32 v208, 0                                      // 000000002E38: 7FA00280
	v_mov_b32_e32 v113, 0                                      // 000000002E3C: 7EE20280
	v_mov_b32_e32 v209, 0                                      // 000000002E40: 7FA20280
	v_mov_b32_e32 v114, 0                                      // 000000002E44: 7EE40280
	v_mov_b32_e32 v210, 0                                      // 000000002E48: 7FA40280
	v_mov_b32_e32 v115, 0                                      // 000000002E4C: 7EE60280
	v_mov_b32_e32 v211, 0                                      // 000000002E50: 7FA60280
	v_mov_b32_e32 v116, 0                                      // 000000002E54: 7EE80280
	v_mov_b32_e32 v212, 0                                      // 000000002E58: 7FA80280
	v_mov_b32_e32 v117, 0                                      // 000000002E5C: 7EEA0280
	v_mov_b32_e32 v213, 0                                      // 000000002E60: 7FAA0280
	v_mov_b32_e32 v118, 0                                      // 000000002E64: 7EEC0280
	v_mov_b32_e32 v214, 0                                      // 000000002E68: 7FAC0280
	v_mov_b32_e32 v119, 0                                      // 000000002E6C: 7EEE0280
	v_mov_b32_e32 v215, 0                                      // 000000002E70: 7FAE0280
	v_mov_b32_e32 v120, 0                                      // 000000002E74: 7EF00280
	v_mov_b32_e32 v216, 0                                      // 000000002E78: 7FB00280
	v_mov_b32_e32 v121, 0                                      // 000000002E7C: 7EF20280
	v_mov_b32_e32 v217, 0                                      // 000000002E80: 7FB20280
	v_mov_b32_e32 v122, 0                                      // 000000002E84: 7EF40280
	v_mov_b32_e32 v218, 0                                      // 000000002E88: 7FB40280
	v_mov_b32_e32 v123, 0                                      // 000000002E8C: 7EF60280
	v_mov_b32_e32 v219, 0                                      // 000000002E90: 7FB60280
	v_mov_b32_e32 v124, 0                                      // 000000002E94: 7EF80280
	v_mov_b32_e32 v220, 0                                      // 000000002E98: 7FB80280
	v_mov_b32_e32 v125, 0                                      // 000000002E9C: 7EFA0280
	v_mov_b32_e32 v221, 0                                      // 000000002EA0: 7FBA0280
	v_mov_b32_e32 v126, 0                                      // 000000002EA4: 7EFC0280
	v_mov_b32_e32 v222, 0                                      // 000000002EA8: 7FBC0280
	v_mov_b32_e32 v127, 0                                      // 000000002EAC: 7EFE0280
	v_mov_b32_e32 v223, 0                                      // 000000002EB0: 7FBE0280
	v_mov_b32_e32 v128, 0                                      // 000000002EB4: 7F000280
	v_mov_b32_e32 v224, 0                                      // 000000002EB8: 7FC00280
	v_mov_b32_e32 v129, 0                                      // 000000002EBC: 7F020280
	v_mov_b32_e32 v225, 0                                      // 000000002EC0: 7FC20280
	v_mov_b32_e32 v130, 0                                      // 000000002EC4: 7F040280
	v_mov_b32_e32 v226, 0                                      // 000000002EC8: 7FC40280
	v_mov_b32_e32 v131, 0                                      // 000000002ECC: 7F060280
	v_mov_b32_e32 v227, 0                                      // 000000002ED0: 7FC60280
	v_mov_b32_e32 v132, 0                                      // 000000002ED4: 7F080280
	v_mov_b32_e32 v228, 0                                      // 000000002ED8: 7FC80280
	v_mov_b32_e32 v133, 0                                      // 000000002EDC: 7F0A0280
	v_mov_b32_e32 v229, 0                                      // 000000002EE0: 7FCA0280
	v_mov_b32_e32 v134, 0                                      // 000000002EE4: 7F0C0280
	v_mov_b32_e32 v230, 0                                      // 000000002EE8: 7FCC0280
	v_mov_b32_e32 v135, 0                                      // 000000002EEC: 7F0E0280
	v_mov_b32_e32 v231, 0                                      // 000000002EF0: 7FCE0280
	v_mov_b32_e32 v136, 0                                      // 000000002EF4: 7F100280
	v_mov_b32_e32 v232, 0                                      // 000000002EF8: 7FD00280
	v_mov_b32_e32 v137, 0                                      // 000000002EFC: 7F120280
	v_mov_b32_e32 v233, 0                                      // 000000002F00: 7FD20280
	v_mov_b32_e32 v138, 0                                      // 000000002F04: 7F140280
	v_mov_b32_e32 v234, 0                                      // 000000002F08: 7FD40280
	v_mov_b32_e32 v139, 0                                      // 000000002F0C: 7F160280
	v_mov_b32_e32 v235, 0                                      // 000000002F10: 7FD60280
	v_mov_b32_e32 v140, 0                                      // 000000002F14: 7F180280
	v_mov_b32_e32 v236, 0                                      // 000000002F18: 7FD80280
	v_mov_b32_e32 v141, 0                                      // 000000002F1C: 7F1A0280
	v_mov_b32_e32 v237, 0                                      // 000000002F20: 7FDA0280
	v_mov_b32_e32 v142, 0                                      // 000000002F24: 7F1C0280
	v_mov_b32_e32 v238, 0                                      // 000000002F28: 7FDC0280
	v_mov_b32_e32 v143, 0                                      // 000000002F2C: 7F1E0280
	v_mov_b32_e32 v239, 0                                      // 000000002F30: 7FDE0280
	v_mov_b32_e32 v144, 0                                      // 000000002F34: 7F200280
	v_mov_b32_e32 v240, 0                                      // 000000002F38: 7FE00280
	v_mov_b32_e32 v145, 0                                      // 000000002F3C: 7F220280
	v_mov_b32_e32 v241, 0                                      // 000000002F40: 7FE20280
	v_mov_b32_e32 v146, 0                                      // 000000002F44: 7F240280
	v_mov_b32_e32 v242, 0                                      // 000000002F48: 7FE40280
	v_mov_b32_e32 v147, 0                                      // 000000002F4C: 7F260280
	v_mov_b32_e32 v243, 0                                      // 000000002F50: 7FE60280
	v_mov_b32_e32 v148, 0                                      // 000000002F54: 7F280280
	v_mov_b32_e32 v244, 0                                      // 000000002F58: 7FE80280
	v_mov_b32_e32 v149, 0                                      // 000000002F5C: 7F2A0280
	v_mov_b32_e32 v245, 0                                      // 000000002F60: 7FEA0280
	v_mov_b32_e32 v150, 0                                      // 000000002F64: 7F2C0280
	v_mov_b32_e32 v246, 0                                      // 000000002F68: 7FEC0280
	v_mov_b32_e32 v151, 0                                      // 000000002F6C: 7F2E0280
	v_mov_b32_e32 v247, 0                                      // 000000002F70: 7FEE0280
	s_mul_i32 s60, s2, 0x200                                   // 000000002F74: 923CFF02 00000200
	s_cmp_eq_u32 s88, 0                                        // 000000002F7C: BF068058
	s_cselect_b32 s61, 1, 4                                    // 000000002F80: 853D8481
	s_mul_i32 s60, s60, s61                                    // 000000002F84: 923C3D3C
	s_mov_b32 s90, s8                                          // 000000002F88: BEDA0008
	s_mov_b32 s91, s9                                          // 000000002F8C: BEDB0009
	s_add_u32 s8, s60, s8                                      // 000000002F90: 8008083C
	s_addc_u32 s9, 0, s9                                       // 000000002F94: 82090980
	v_lshrrev_b32_e32 v4, 4, v0                                // 000000002F98: 20080084
	v_mul_lo_u32 v20, 34, v4                                   // 000000002F9C: D2850014 000208A2
	v_and_b32_e32 v4, 15, v0                                   // 000000002FA4: 2608008F
	v_mul_lo_u32 v5, 2, v4                                     // 000000002FA8: D2850005 00020882
	v_add_u32_e32 v20, v5, v20                                 // 000000002FB0: 68282905
	s_mul_i32 s60, s7, 0x88                                    // 000000002FB4: 923CFF07 00000088
	v_add_u32_e32 v20, s60, v20                                // 000000002FBC: 6828283C
	v_lshlrev_b32_e32 v20, 2, v20                              // 000000002FC0: 24282882
	v_and_b32_e32 v4, 31, v0                                   // 000000002FC4: 2608009F
	v_lshrrev_b32_e32 v4, 1, v4                                // 000000002FC8: 20080881
	v_mul_lo_u32 v21, 34, v4                                   // 000000002FCC: D2850015 000208A2
	v_lshrrev_b32_e32 v4, 5, v0                                // 000000002FD4: 20080085
	v_mul_lo_u32 v4, 8, v4                                     // 000000002FD8: D2850004 00020888
	v_add_u32_e32 v21, v21, v4                                 // 000000002FE0: 682A0915
	v_and_b32_e32 v5, 1, v0                                    // 000000002FE4: 260A0081
	v_add_u32_e32 v21, v5, v21                                 // 000000002FE8: 682A2B05
	s_mul_i32 s60, s7, 2                                       // 000000002FEC: 923C8207
	v_add_u32_e32 v21, s60, v21                                // 000000002FF0: 682A2A3C
	v_lshlrev_b32_e32 v21, 2, v21                              // 000000002FF4: 242A2A82
	s_mul_i32 s60, s7, 0x620                                   // 000000002FF8: 923CFF07 00000620
	s_add_u32 s48, 0, s60                                      // 000000003000: 80303C80
	s_add_u32 s49, 0x1880, s48                                 // 000000003004: 803130FF 00001880
	s_add_u32 s50, 0x1880, s49                                 // 00000000300C: 803231FF 00001880
	v_lshrrev_b32_e32 v4, 4, v0                                // 000000003014: 20080084
	v_lshlrev_b32_e32 v5, 2, v4                                // 000000003018: 240A0882
	v_and_b32_e32 v4, 15, v0                                   // 00000000301C: 2608008F
	v_lshrrev_b32_e32 v6, 2, v4                                // 000000003020: 200C0882
	v_lshlrev_b32_e32 v6, 5, v6                                // 000000003024: 240C0C85
	v_add_u32_e32 v5, v6, v5                                   // 000000003028: 680A0B06
	v_and_b32_e32 v4, 3, v0                                    // 00000000302C: 26080083
	v_mul_u32_u24_e32 v6, 0x188, v4                            // 000000003030: 100C08FF 00000188
	v_add_u32_e32 v5, v6, v5                                   // 000000003038: 680A0B06
	v_lshlrev_b32_e32 v2, 2, v5                                // 00000000303C: 24040A82
	s_waitcnt lgkmcnt(0)                                       // 000000003040: BF8CC07F
	s_mul_i32 s60, s2, 0x200                                   // 000000003044: 923CFF02 00000200
	s_mul_i32 s60, s60, s69                                    // 00000000304C: 923C453C
	s_mul_i32 s61, s5, s72                                     // 000000003050: 923D4805
	s_add_u32 s60, s61, s60                                    // 000000003054: 803C3C3D
	s_add_u32 s24, s60, s24                                    // 000000003058: 8018183C
	s_addc_u32 s25, 0, s25                                     // 00000000305C: 82191980
	s_lshr_b32 s60, s64, s88                                   // 000000003060: 8F3C5840
	s_mul_i32 s60, s4, s60                                     // 000000003064: 923C3C04
	s_lshr_b32 s60, s60, 7                                     // 000000003068: 8F3C873C
	s_mul_i32 s60, s60, 0x800                                  // 00000000306C: 923CFF3C 00000800
	s_add_u32 s24, s60, s24                                    // 000000003074: 8018183C
	s_addc_u32 s25, 0, s25                                     // 000000003078: 82191980
	s_lshr_b32 s60, s69, s88                                   // 00000000307C: 8F3C5845
	s_mul_i32 s60, s4, s60                                     // 000000003080: 923C3C04
	s_add_u32 s20, s60, s20                                    // 000000003084: 8014143C
	s_addc_u32 s21, 0, s21                                     // 000000003088: 82151580
	s_mul_i32 s60, s7, 16                                      // 00000000308C: 923C9007
	s_mul_i32 s60, s60, s69                                    // 000000003090: 923C453C
	v_lshlrev_b32_e32 v48, 4, v0                               // 000000003094: 24600084
	v_add_u32_e32 v48, s60, v48                                // 000000003098: 6860603C
	s_mul_i32 s60, 64, s69                                     // 00000000309C: 923C45C0
	v_add_u32_e32 v49, s60, v48                                // 0000000030A0: 6862603C
	v_add_u32_e32 v50, s60, v49                                // 0000000030A4: 6864623C
	v_add_u32_e32 v51, s60, v50                                // 0000000030A8: 6866643C
	v_add_u32_e32 v52, s60, v51                                // 0000000030AC: 6868663C
	v_add_u32_e32 v53, s60, v52                                // 0000000030B0: 686A683C
	v_add_u32_e32 v54, s60, v53                                // 0000000030B4: 686C6A3C
	v_add_u32_e32 v55, s60, v54                                // 0000000030B8: 686E6C3C
	s_mov_b32 s84, s24                                         // 0000000030BC: BED40018
	s_mov_b32 s85, s25                                         // 0000000030C0: BED50019
	s_mov_b32 s86, s26                                         // 0000000030C4: BED6001A
	s_mov_b32 s87, s27                                         // 0000000030C8: BED7001B
	s_mul_i32 s60, s69, s65                                    // 0000000030CC: 923C4145
	s_add_u32 s84, s60, s84                                    // 0000000030D0: 8054543C
	s_addc_u32 s85, 0, s85                                     // 0000000030D4: 82555580
	s_lshr_b32 s60, s64, 7                                     // 0000000030D8: 8F3C8740
	s_mul_i32 s61, s60, 4                                      // 0000000030DC: 923D843C
	v_and_b32_e32 v22, 15, v0                                  // 0000000030E0: 262C008F
	v_mul_lo_u32 v22, v22, s61                                 // 0000000030E4: D2850016 00007B16
	s_lshr_b32 s60, s65, 7                                     // 0000000030EC: 8F3C8741
	s_mul_i32 s60, s60, s61                                    // 0000000030F0: 923C3D3C
	v_add_u32_e64 v23, v22, s60                                // 0000000030F4: D1340017 00007916
	s_mul_i32 s60, s2, 4                                       // 0000000030FC: 923C8402
	s_mul_i32 s60, s60, s61                                    // 000000003100: 923C3D3C
	s_mul_i32 s61, s5, s74                                     // 000000003104: 923D4A05
	s_add_u32 s61, s61, s60                                    // 000000003108: 803D3C3D
	s_add_u32 s32, s61, s32                                    // 00000000310C: 8020203D
	s_addc_u32 s33, 0, s33                                     // 000000003110: 82212180
	s_lshr_b32 s60, s64, 7                                     // 000000003114: 8F3C8740
	s_lshr_b32 s60, s60, s88                                   // 000000003118: 8F3C583C
	s_mul_i32 s60, s4, s60                                     // 00000000311C: 923C3C04
	s_mul_i32 s61, s60, 4                                      // 000000003120: 923D843C
	s_add_u32 s32, s61, s32                                    // 000000003124: 8020203D
	s_addc_u32 s33, 0, s33                                     // 000000003128: 82212180
	s_lshl_b32 s62, s66, 2                                     // 00000000312C: 8E3E8242
	s_mul_i32 s62, s60, s62                                    // 000000003130: 923E3E3C
	s_add_u32 s28, s62, s28                                    // 000000003134: 801C1C3E
	s_addc_u32 s29, 0, s29                                     // 000000003138: 821D1D80
	s_mov_b32 s4, 4                                            // 00000000313C: BE840084
	s_mov_b32 s57, 0x80                                        // 000000003140: BEB900FF 00000080
	s_mov_b32 s58, 0x800                                       // 000000003148: BEBA00FF 00000800
	s_mov_b32 s83, s58                                         // 000000003150: BED3003A
	s_mov_b32 s52, 0x7060302                                   // 000000003154: BEB400FF 07060302
	s_mov_b32 s53, 0x400                                       // 00000000315C: BEB500FF 00000400
	s_mov_b32 s54, 0x40100                                     // 000000003164: BEB600FF 00040100
	s_mov_b32 s55, 0x4020100                                   // 00000000316C: BEB700FF 04020100
	s_mov_b32 s6, 0x3fb8aa3b                                   // 000000003174: BE8600FF 3FB8AA3B
	s_mov_b32 s78, 0xbd92220c                                  // 00000000317C: BECE00FF BD92220C
	s_mov_b32 s79, 0xbd92220c                                  // 000000003184: BECF00FF BD92220C
	s_mov_b32 m0, s48                                          // 00000000318C: BEFC0030
	v_mov_b32_e32 v1, 0xbfcc4231                               // 000000003190: 7E0202FF BFCC4231
	v_mov_b32_e32 v17, 0xffff0000                              // 000000003198: 7E2202FF FFFF0000
	v_mov_b32_e32 v18, 0x7fff0000                              // 0000000031A0: 7E2402FF 7FFF0000
	v_mov_b32_e32 v19, 0x7fff                                  // 0000000031A8: 7E2602FF 00007FFF
	s_waitcnt vmcnt(0) expcnt(0) lgkmcnt(0)                    // 0000000031B0: BF8C0000
	v_lshrrev_b32_e32 v4, 5, v0                                // 0000000031B4: 20080085
	v_xor_b32_e32 v5, 1, v4                                    // 0000000031B8: 2A0A0881
	v_readlane_b32 s82, v3, 0                                  // 0000000031BC: D2890052 00010103
	s_and_b32 s82, s82, 0xffffff                               // 0000000031C4: 8652FF52 00FFFFFF
	v_mul_lo_u32 v6, v5, s82                                   // 0000000031CC: D2850006 0000A505
	v_readlane_b32 s82, v3, 1                                  // 0000000031D4: D2890052 00010303
	s_and_b32 s82, s82, 0xffffff                               // 0000000031DC: 8652FF52 00FFFFFF
	v_mul_lo_u32 v7, v4, s82                                   // 0000000031E4: D2850007 0000A504
	v_add_u32_e32 v42, v6, v7                                  // 0000000031EC: 68540F06
	v_mul_lo_u32 v42, v42, s68                                 // 0000000031F0: D285002A 0000892A
	v_readlane_b32 s82, v3, 2                                  // 0000000031F8: D2890052 00010503
	s_and_b32 s82, s82, 0xffffff                               // 000000003200: 8652FF52 00FFFFFF
	v_mul_lo_u32 v6, v5, s82                                   // 000000003208: D2850006 0000A505
	v_readlane_b32 s82, v3, 3                                  // 000000003210: D2890052 00010703
	s_and_b32 s82, s82, 0xffffff                               // 000000003218: 8652FF52 00FFFFFF
	v_mul_lo_u32 v7, v4, s82                                   // 000000003220: D2850007 0000A504
	v_add_u32_e32 v43, v6, v7                                  // 000000003228: 68560F06
	v_mul_lo_u32 v43, v43, s68                                 // 00000000322C: D285002B 0000892B
	v_readlane_b32 s82, v3, 4                                  // 000000003234: D2890052 00010903
	s_and_b32 s82, s82, 0xffffff                               // 00000000323C: 8652FF52 00FFFFFF
	v_mul_lo_u32 v6, v5, s82                                   // 000000003244: D2850006 0000A505
	v_readlane_b32 s82, v3, 5                                  // 00000000324C: D2890052 00010B03
	s_and_b32 s82, s82, 0xffffff                               // 000000003254: 8652FF52 00FFFFFF
	v_mul_lo_u32 v7, v4, s82                                   // 00000000325C: D2850007 0000A504
	v_add_u32_e32 v44, v6, v7                                  // 000000003264: 68580F06
	v_mul_lo_u32 v44, v44, s68                                 // 000000003268: D285002C 0000892C
	v_readlane_b32 s82, v3, 6                                  // 000000003270: D2890052 00010D03
	s_and_b32 s82, s82, 0xffffff                               // 000000003278: 8652FF52 00FFFFFF
	v_mul_lo_u32 v6, v5, s82                                   // 000000003280: D2850006 0000A505
	v_readlane_b32 s82, v3, 7                                  // 000000003288: D2890052 00010F03
	s_and_b32 s82, s82, 0xffffff                               // 000000003290: 8652FF52 00FFFFFF
	v_mul_lo_u32 v7, v4, s82                                   // 000000003298: D2850007 0000A504
	v_add_u32_e32 v45, v6, v7                                  // 0000000032A0: 685A0F06
	v_mul_lo_u32 v45, v45, s68                                 // 0000000032A4: D285002D 0000892D
	v_readlane_b32 s82, v3, 8                                  // 0000000032AC: D2890052 00011103
	s_and_b32 s82, s82, 0xffffff                               // 0000000032B4: 8652FF52 00FFFFFF
	v_mul_lo_u32 v6, v5, s82                                   // 0000000032BC: D2850006 0000A505
	v_readlane_b32 s82, v3, 9                                  // 0000000032C4: D2890052 00011303
	s_and_b32 s82, s82, 0xffffff                               // 0000000032CC: 8652FF52 00FFFFFF
	v_mul_lo_u32 v7, v4, s82                                   // 0000000032D4: D2850007 0000A504
	v_add_u32_e32 v46, v6, v7                                  // 0000000032DC: 685C0F06
	v_mul_lo_u32 v46, v46, s68                                 // 0000000032E0: D285002E 0000892E
	v_readlane_b32 s82, v3, 10                                 // 0000000032E8: D2890052 00011503
	s_and_b32 s82, s82, 0xffffff                               // 0000000032F0: 8652FF52 00FFFFFF
	v_mul_lo_u32 v6, v5, s82                                   // 0000000032F8: D2850006 0000A505
	v_readlane_b32 s82, v3, 11                                 // 000000003300: D2890052 00011703
	s_and_b32 s82, s82, 0xffffff                               // 000000003308: 8652FF52 00FFFFFF
	v_mul_lo_u32 v7, v4, s82                                   // 000000003310: D2850007 0000A504
	v_add_u32_e32 v47, v6, v7                                  // 000000003318: 685E0F06
	v_mul_lo_u32 v47, v47, s68                                 // 00000000331C: D285002F 0000892F
	v_and_b32_e32 v4, 31, v0                                   // 000000003324: 2608009F
	v_lshlrev_b32_e32 v4, 2, v4                                // 000000003328: 24080882
	v_add_u32_e32 v42, v42, v4                                 // 00000000332C: 6854092A
	v_add_u32_e32 v43, v43, v4                                 // 000000003330: 6856092B
	v_add_u32_e32 v44, v44, v4                                 // 000000003334: 6858092C
	v_add_u32_e32 v45, v45, v4                                 // 000000003338: 685A092D
	v_add_u32_e32 v46, v46, v4                                 // 00000000333C: 685C092E
	v_add_u32_e32 v47, v47, v4                                 // 000000003340: 685E092F
	v_and_b32_e32 v30, 0xffffff, v30                           // 000000003344: 263C3CFF 00FFFFFF
	v_lshlrev_b32_e32 v30, 2, v30                              // 00000000334C: 243C3C82
	v_and_b32_e32 v31, 0xffffff, v31                           // 000000003350: 263E3EFF 00FFFFFF
	v_lshlrev_b32_e32 v31, 2, v31                              // 000000003358: 243E3E82
	v_and_b32_e32 v32, 0xffffff, v32                           // 00000000335C: 264040FF 00FFFFFF
	v_lshlrev_b32_e32 v32, 2, v32                              // 000000003364: 24404082
	s_lshl_b32 s3, s66, 2                                      // 000000003368: 8E038242
	buffer_load_dword v42, s[20:23], 0 offen lds               // 00000000336C: E0511000 8005002A
	s_add_u32 m0, 0x100, s48                                   // 000000003374: 807C30FF 00000100
	buffer_load_dword v43, s[20:23], 0 offen lds               // 00000000337C: E0511000 8005002B
	s_add_u32 m0, 0x200, s48                                   // 000000003384: 807C30FF 00000200
	buffer_load_dword v44, s[20:23], 0 offen lds               // 00000000338C: E0511000 8005002C
	s_add_u32 m0, 0x300, s48                                   // 000000003394: 807C30FF 00000300
	buffer_load_dword v45, s[20:23], 0 offen lds               // 00000000339C: E0511000 8005002D
	s_add_u32 m0, 0x400, s48                                   // 0000000033A4: 807C30FF 00000400
	buffer_load_dword v46, s[20:23], 0 offen lds               // 0000000033AC: E0511000 8005002E
	s_add_u32 m0, 0x500, s48                                   // 0000000033B4: 807C30FF 00000500
	buffer_load_dword v47, s[20:23], 0 offen lds               // 0000000033BC: E0511000 8005002F
	s_add_u32 m0, 0, s49                                       // 0000000033C4: 807C3180
	s_add_u32 s20, s57, s20                                    // 0000000033C8: 80141439
	s_addc_u32 s21, 0, s21                                     // 0000000033CC: 82151580
	buffer_load_dword v33, v30, s[28:31], 0 offen              // 0000000033D0: E0501000 8007211E
	buffer_load_dword v34, v31, s[28:31], 0 offen              // 0000000033D8: E0501000 8007221F
	buffer_load_dword v35, v32, s[28:31], 0 offen              // 0000000033E0: E0501000 80072320
	s_add_u32 s28, s3, s28                                     // 0000000033E8: 801C1C03
	s_addc_u32 s29, 0, s29                                     // 0000000033EC: 821D1D80
	buffer_load_dwordx4 a[48:51], v48, s[24:27], 0 offen       // 0000000033F0: E05C1000 80863030
	buffer_load_dwordx4 a[52:55], v48, s[24:27], 0 offen offset:1024// 0000000033F8: E05C1400 80863430
	buffer_load_dwordx4 a[56:59], v49, s[24:27], 0 offen       // 000000003400: E05C1000 80863831
	buffer_load_dwordx4 a[60:63], v49, s[24:27], 0 offen offset:1024// 000000003408: E05C1400 80863C31
	buffer_load_dwordx4 a[64:67], v50, s[24:27], 0 offen       // 000000003410: E05C1000 80864032
	buffer_load_dwordx4 a[68:71], v50, s[24:27], 0 offen offset:1024// 000000003418: E05C1400 80864432
	buffer_load_dwordx4 a[72:75], v51, s[24:27], 0 offen       // 000000003420: E05C1000 80864833
	buffer_load_dwordx4 a[76:79], v51, s[24:27], 0 offen offset:1024// 000000003428: E05C1400 80864C33
	buffer_load_dwordx4 a[80:83], v52, s[24:27], 0 offen       // 000000003430: E05C1000 80865034
	buffer_load_dwordx4 a[84:87], v52, s[24:27], 0 offen offset:1024// 000000003438: E05C1400 80865434
	buffer_load_dwordx4 a[88:91], v53, s[24:27], 0 offen       // 000000003440: E05C1000 80865835
	buffer_load_dwordx4 a[92:95], v53, s[24:27], 0 offen offset:1024// 000000003448: E05C1400 80865C35
	buffer_load_dwordx4 a[96:99], v54, s[24:27], 0 offen       // 000000003450: E05C1000 80866036
	buffer_load_dwordx4 a[100:103], v54, s[24:27], 0 offen offset:1024// 000000003458: E05C1400 80866436
	buffer_load_dwordx4 a[104:107], v55, s[24:27], 0 offen     // 000000003460: E05C1000 80866837
	buffer_load_dwordx4 a[108:111], v55, s[24:27], 0 offen offset:1024// 000000003468: E05C1400 80866C37
	s_add_u32 s24, s58, s24                                    // 000000003470: 8018183A
	s_addc_u32 s25, 0, s25                                     // 000000003474: 82191980
	buffer_load_dword v24, v22, s[32:35], 0 offen              // 000000003478: E0501000 80081816
	buffer_load_dword v42, s[20:23], 0 offen lds               // 000000003480: E0511000 8005002A
	s_add_u32 m0, 0x100, s49                                   // 000000003488: 807C31FF 00000100
	buffer_load_dword v43, s[20:23], 0 offen lds               // 000000003490: E0511000 8005002B
	s_add_u32 m0, 0x200, s49                                   // 000000003498: 807C31FF 00000200
	buffer_load_dword v44, s[20:23], 0 offen lds               // 0000000034A0: E0511000 8005002C
	s_add_u32 m0, 0x300, s49                                   // 0000000034A8: 807C31FF 00000300
	buffer_load_dword v45, s[20:23], 0 offen lds               // 0000000034B0: E0511000 8005002D
	s_add_u32 m0, 0x400, s49                                   // 0000000034B8: 807C31FF 00000400
	buffer_load_dword v46, s[20:23], 0 offen lds               // 0000000034C0: E0511000 8005002E
	s_add_u32 m0, 0x500, s49                                   // 0000000034C8: 807C31FF 00000500
	buffer_load_dword v47, s[20:23], 0 offen lds               // 0000000034D0: E0511000 8005002F
	s_add_u32 m0, 0, s50                                       // 0000000034D8: 807C3280
	s_add_u32 s20, s57, s20                                    // 0000000034DC: 80141439
	s_addc_u32 s21, 0, s21                                     // 0000000034E0: 82151580
	buffer_load_dword v36, v30, s[28:31], 0 offen              // 0000000034E4: E0501000 8007241E
	buffer_load_dword v37, v31, s[28:31], 0 offen              // 0000000034EC: E0501000 8007251F
	buffer_load_dword v38, v32, s[28:31], 0 offen              // 0000000034F4: E0501000 80072620
	s_add_u32 s28, s3, s28                                     // 0000000034FC: 801C1C03
	s_addc_u32 s29, 0, s29                                     // 000000003500: 821D1D80
	buffer_load_dwordx4 a[112:115], v48, s[84:87], 0 offen     // 000000003504: E05C1000 80957030
	buffer_load_dwordx4 a[116:119], v48, s[84:87], 0 offen offset:1024// 00000000350C: E05C1400 80957430
	buffer_load_dwordx4 a[120:123], v49, s[84:87], 0 offen     // 000000003514: E05C1000 80957831
	buffer_load_dwordx4 a[124:127], v49, s[84:87], 0 offen offset:1024// 00000000351C: E05C1400 80957C31
	buffer_load_dwordx4 a[128:131], v50, s[84:87], 0 offen     // 000000003524: E05C1000 80958032
	buffer_load_dwordx4 a[132:135], v50, s[84:87], 0 offen offset:1024// 00000000352C: E05C1400 80958432
	buffer_load_dwordx4 a[136:139], v51, s[84:87], 0 offen     // 000000003534: E05C1000 80958833
	buffer_load_dwordx4 a[140:143], v51, s[84:87], 0 offen offset:1024// 00000000353C: E05C1400 80958C33
	buffer_load_dwordx4 a[144:147], v52, s[84:87], 0 offen     // 000000003544: E05C1000 80959034
	buffer_load_dwordx4 a[148:151], v52, s[84:87], 0 offen offset:1024// 00000000354C: E05C1400 80959434
	buffer_load_dwordx4 a[152:155], v53, s[84:87], 0 offen     // 000000003554: E05C1000 80959835
	buffer_load_dwordx4 a[156:159], v53, s[84:87], 0 offen offset:1024// 00000000355C: E05C1400 80959C35
	buffer_load_dwordx4 a[160:163], v54, s[84:87], 0 offen     // 000000003564: E05C1000 8095A036
	buffer_load_dwordx4 a[164:167], v54, s[84:87], 0 offen offset:1024// 00000000356C: E05C1400 8095A436
	buffer_load_dwordx4 a[168:171], v55, s[84:87], 0 offen     // 000000003574: E05C1000 8095A837
	buffer_load_dwordx4 a[172:175], v55, s[84:87], 0 offen offset:1024// 00000000357C: E05C1400 8095AC37
	s_add_u32 s84, s83, s84                                    // 000000003584: 80545453
	s_addc_u32 s85, 0, s85                                     // 000000003588: 82555580
	buffer_load_dword v27, v23, s[32:35], 0 offen              // 00000000358C: E0501000 80081B17
	s_add_u32 s32, s4, s32                                     // 000000003594: 80202004
	s_addc_u32 s33, 0, s33                                     // 000000003598: 82212180
	s_waitcnt vmcnt(46)                                        // 00000000359C: BF8C8F7E
	s_barrier                                                  // 0000000035A0: BF8A0000
	ds_read_b128 a[0:3], v2                                    // 0000000035A4: DBFE0000 00000002
	ds_read_b128 a[4:7], v2 offset:64                          // 0000000035AC: DBFE0040 04000002
	ds_read_b128 a[8:11], v2 offset:512                        // 0000000035B4: DBFE0200 08000002
	ds_read_b128 a[12:15], v2 offset:576                       // 0000000035BC: DBFE0240 0C000002
	ds_read_b128 a[16:19], v2 offset:1024                      // 0000000035C4: DBFE0400 10000002
	ds_read_b128 a[20:23], v2 offset:1088                      // 0000000035CC: DBFE0440 14000002
	s_cmp_lt_i32 s7, 2                                         // 0000000035D4: BF048207
	s_cbranch_scc0 label_2C1C                                  // 0000000035D8: BF842922

00000000000035dc <label_02F7>:
	s_waitcnt vmcnt(26) lgkmcnt(0)                             // 0000000035DC: BF8C407A
	v_mul_f32_dpp v4, v24, v33 row_newbcast:0 row_mask:0xf bank_mask:0xf// 0000000035E0: 0A0842FA FF015018
	v_mfma_f32_16x16x32_fp8_fp8 v[8:11], a[48:49], a[0:1], 0   // 0000000035E8: D3F30008 1A020130
	buffer_load_dword v25, v22, s[32:35], 0 offen              // 0000000035F0: E0501000 80081916
	v_mfma_f32_16x16x32_fp8_fp8 v[8:11], a[50:51], a[2:3], v[8:11]// 0000000035F8: D3F30008 1C220532
	buffer_load_dwordx4 a[176:179], v48, s[24:27], 0 offen     // 000000003600: E05C1000 8086B030
	v_mfma_f32_16x16x32_fp8_fp8 v[8:11], a[52:53], a[4:5], v[8:11]// 000000003608: D3F30008 1C220934
	v_mfma_f32_16x16x32_fp8_fp8 v[8:11], a[54:55], a[6:7], v[8:11]// 000000003610: D3F30008 1C220D36
	v_mfma_f32_16x16x32_fp8_fp8 v[12:15], a[56:57], a[0:1], 0  // 000000003618: D3F3000C 1A020138
	v_mfma_f32_16x16x32_fp8_fp8 v[12:15], a[58:59], a[2:3], v[12:15]// 000000003620: D3F3000C 1C32053A
	buffer_load_dwordx4 a[180:183], v48, s[24:27], 0 offen offset:1024// 000000003628: E05C1400 8086B430
	v_mfma_f32_16x16x32_fp8_fp8 v[12:15], a[60:61], a[4:5], v[12:15]// 000000003630: D3F3000C 1C32093C
	v_mfma_f32_16x16x32_fp8_fp8 v[12:15], a[62:63], a[6:7], v[12:15]// 000000003638: D3F3000C 1C320D3E
	v_fma_f32 v56, v8, v4, v56                                 // 000000003640: D1CB0038 04E20908
	v_fma_f32 v57, v9, v4, v57                                 // 000000003648: D1CB0039 04E60909
	v_fma_f32 v58, v10, v4, v58                                // 000000003650: D1CB003A 04EA090A
	v_fma_f32 v59, v11, v4, v59                                // 000000003658: D1CB003B 04EE090B
	v_mul_f32_dpp v6, v24, v33 row_newbcast:1 row_mask:0xf bank_mask:0xf// 000000003660: 0A0C42FA FF015118
	v_mfma_f32_16x16x32_fp8_fp8 v[8:11], a[64:65], a[0:1], 0   // 000000003668: D3F30008 1A020140
	v_mfma_f32_16x16x32_fp8_fp8 v[8:11], a[66:67], a[2:3], v[8:11]// 000000003670: D3F30008 1C220542
	buffer_load_dwordx4 a[184:187], v49, s[24:27], 0 offen     // 000000003678: E05C1000 8086B831
	v_mfma_f32_16x16x32_fp8_fp8 v[8:11], a[68:69], a[4:5], v[8:11]// 000000003680: D3F30008 1C220944
	v_mfma_f32_16x16x32_fp8_fp8 v[8:11], a[70:71], a[6:7], v[8:11]// 000000003688: D3F30008 1C220D46
	v_fma_f32 v68, v12, v4, v68                                // 000000003690: D1CB0044 0512090C
	v_fma_f32 v69, v13, v4, v69                                // 000000003698: D1CB0045 0516090D
	v_fma_f32 v70, v14, v4, v70                                // 0000000036A0: D1CB0046 051A090E
	v_fma_f32 v71, v15, v4, v71                                // 0000000036A8: D1CB0047 051E090F
	v_mfma_f32_16x16x32_fp8_fp8 v[12:15], a[72:73], a[0:1], 0  // 0000000036B0: D3F3000C 1A020148
	v_mfma_f32_16x16x32_fp8_fp8 v[12:15], a[74:75], a[2:3], v[12:15]// 0000000036B8: D3F3000C 1C32054A
	buffer_load_dwordx4 a[188:191], v49, s[24:27], 0 offen offset:1024// 0000000036C0: E05C1400 8086BC31
	v_mfma_f32_16x16x32_fp8_fp8 v[12:15], a[76:77], a[4:5], v[12:15]// 0000000036C8: D3F3000C 1C32094C
	v_mfma_f32_16x16x32_fp8_fp8 v[12:15], a[78:79], a[6:7], v[12:15]// 0000000036D0: D3F3000C 1C320D4E
	v_fma_f32 v80, v8, v6, v80                                 // 0000000036D8: D1CB0050 05420D08
	v_fma_f32 v81, v9, v6, v81                                 // 0000000036E0: D1CB0051 05460D09
	v_fma_f32 v82, v10, v6, v82                                // 0000000036E8: D1CB0052 054A0D0A
	v_fma_f32 v83, v11, v6, v83                                // 0000000036F0: D1CB0053 054E0D0B
	v_mul_f32_dpp v4, v24, v33 row_newbcast:2 row_mask:0xf bank_mask:0xf// 0000000036F8: 0A0842FA FF015218
	v_mfma_f32_16x16x32_fp8_fp8 v[8:11], a[80:81], a[0:1], 0   // 000000003700: D3F30008 1A020150
	v_mfma_f32_16x16x32_fp8_fp8 v[8:11], a[82:83], a[2:3], v[8:11]// 000000003708: D3F30008 1C220552
	buffer_load_dwordx4 a[192:195], v50, s[24:27], 0 offen     // 000000003710: E05C1000 8086C032
	v_mfma_f32_16x16x32_fp8_fp8 v[8:11], a[84:85], a[4:5], v[8:11]// 000000003718: D3F30008 1C220954
	v_mfma_f32_16x16x32_fp8_fp8 v[8:11], a[86:87], a[6:7], v[8:11]// 000000003720: D3F30008 1C220D56
	v_fma_f32 v92, v12, v6, v92                                // 000000003728: D1CB005C 05720D0C
	v_fma_f32 v93, v13, v6, v93                                // 000000003730: D1CB005D 05760D0D
	v_fma_f32 v94, v14, v6, v94                                // 000000003738: D1CB005E 057A0D0E
	v_fma_f32 v95, v15, v6, v95                                // 000000003740: D1CB005F 057E0D0F
	v_mfma_f32_16x16x32_fp8_fp8 v[12:15], a[88:89], a[0:1], 0  // 000000003748: D3F3000C 1A020158
	v_mfma_f32_16x16x32_fp8_fp8 v[12:15], a[90:91], a[2:3], v[12:15]// 000000003750: D3F3000C 1C32055A
	buffer_load_dwordx4 a[196:199], v50, s[24:27], 0 offen offset:1024// 000000003758: E05C1400 8086C432
	v_mfma_f32_16x16x32_fp8_fp8 v[12:15], a[92:93], a[4:5], v[12:15]// 000000003760: D3F3000C 1C32095C
	v_mfma_f32_16x16x32_fp8_fp8 v[12:15], a[94:95], a[6:7], v[12:15]// 000000003768: D3F3000C 1C320D5E
	v_fma_f32 v104, v8, v4, v104                               // 000000003770: D1CB0068 05A20908
	v_fma_f32 v105, v9, v4, v105                               // 000000003778: D1CB0069 05A60909
	v_fma_f32 v106, v10, v4, v106                              // 000000003780: D1CB006A 05AA090A
	v_fma_f32 v107, v11, v4, v107                              // 000000003788: D1CB006B 05AE090B
	v_mul_f32_dpp v6, v24, v33 row_newbcast:3 row_mask:0xf bank_mask:0xf// 000000003790: 0A0C42FA FF015318
	v_mfma_f32_16x16x32_fp8_fp8 v[8:11], a[96:97], a[0:1], 0   // 000000003798: D3F30008 1A020160
	v_mfma_f32_16x16x32_fp8_fp8 v[8:11], a[98:99], a[2:3], v[8:11]// 0000000037A0: D3F30008 1C220562
	buffer_load_dwordx4 a[200:203], v51, s[24:27], 0 offen     // 0000000037A8: E05C1000 8086C833
	v_mfma_f32_16x16x32_fp8_fp8 v[8:11], a[100:101], a[4:5], v[8:11]// 0000000037B0: D3F30008 1C220964
	v_mfma_f32_16x16x32_fp8_fp8 v[8:11], a[102:103], a[6:7], v[8:11]// 0000000037B8: D3F30008 1C220D66
	v_fma_f32 v116, v12, v4, v116                              // 0000000037C0: D1CB0074 05D2090C
	v_fma_f32 v117, v13, v4, v117                              // 0000000037C8: D1CB0075 05D6090D
	v_fma_f32 v118, v14, v4, v118                              // 0000000037D0: D1CB0076 05DA090E
	v_fma_f32 v119, v15, v4, v119                              // 0000000037D8: D1CB0077 05DE090F
	v_mfma_f32_16x16x32_fp8_fp8 v[12:15], a[104:105], a[0:1], 0// 0000000037E0: D3F3000C 1A020168
	v_mfma_f32_16x16x32_fp8_fp8 v[12:15], a[106:107], a[2:3], v[12:15]// 0000000037E8: D3F3000C 1C32056A
	buffer_load_dwordx4 a[204:207], v51, s[24:27], 0 offen offset:1024// 0000000037F0: E05C1400 8086CC33
	v_mfma_f32_16x16x32_fp8_fp8 v[12:15], a[108:109], a[4:5], v[12:15]// 0000000037F8: D3F3000C 1C32096C
	v_mfma_f32_16x16x32_fp8_fp8 v[12:15], a[110:111], a[6:7], v[12:15]// 000000003800: D3F3000C 1C320D6E
	v_fma_f32 v128, v8, v6, v128                               // 000000003808: D1CB0080 06020D08
	v_fma_f32 v129, v9, v6, v129                               // 000000003810: D1CB0081 06060D09
	v_fma_f32 v130, v10, v6, v130                              // 000000003818: D1CB0082 060A0D0A
	v_fma_f32 v131, v11, v6, v131                              // 000000003820: D1CB0083 060E0D0B
	v_mul_f32_dpp v4, v24, v34 row_newbcast:0 row_mask:0xf bank_mask:0xf// 000000003828: 0A0844FA FF015018
	v_mfma_f32_16x16x32_fp8_fp8 v[8:11], a[48:49], a[8:9], 0   // 000000003830: D3F30008 1A021130
	v_mfma_f32_16x16x32_fp8_fp8 v[8:11], a[50:51], a[10:11], v[8:11]// 000000003838: D3F30008 1C221532
	buffer_load_dwordx4 a[208:211], v52, s[24:27], 0 offen     // 000000003840: E05C1000 8086D034
	v_mfma_f32_16x16x32_fp8_fp8 v[8:11], a[52:53], a[12:13], v[8:11]// 000000003848: D3F30008 1C221934
	v_mfma_f32_16x16x32_fp8_fp8 v[8:11], a[54:55], a[14:15], v[8:11]// 000000003850: D3F30008 1C221D36
	v_fma_f32 v140, v12, v6, v140                              // 000000003858: D1CB008C 06320D0C
	v_fma_f32 v141, v13, v6, v141                              // 000000003860: D1CB008D 06360D0D
	v_fma_f32 v142, v14, v6, v142                              // 000000003868: D1CB008E 063A0D0E
	v_fma_f32 v143, v15, v6, v143                              // 000000003870: D1CB008F 063E0D0F
	v_mfma_f32_16x16x32_fp8_fp8 v[12:15], a[56:57], a[8:9], 0  // 000000003878: D3F3000C 1A021138
	v_mfma_f32_16x16x32_fp8_fp8 v[12:15], a[58:59], a[10:11], v[12:15]// 000000003880: D3F3000C 1C32153A
	buffer_load_dwordx4 a[212:215], v52, s[24:27], 0 offen offset:1024// 000000003888: E05C1400 8086D434
	v_mfma_f32_16x16x32_fp8_fp8 v[12:15], a[60:61], a[12:13], v[12:15]// 000000003890: D3F3000C 1C32193C
	v_mfma_f32_16x16x32_fp8_fp8 v[12:15], a[62:63], a[14:15], v[12:15]// 000000003898: D3F3000C 1C321D3E
	v_fma_f32 v60, v8, v4, v60                                 // 0000000038A0: D1CB003C 04F20908
	v_fma_f32 v61, v9, v4, v61                                 // 0000000038A8: D1CB003D 04F60909
	v_fma_f32 v62, v10, v4, v62                                // 0000000038B0: D1CB003E 04FA090A
	v_fma_f32 v63, v11, v4, v63                                // 0000000038B8: D1CB003F 04FE090B
	v_mul_f32_dpp v6, v24, v34 row_newbcast:1 row_mask:0xf bank_mask:0xf// 0000000038C0: 0A0C44FA FF015118
	v_mfma_f32_16x16x32_fp8_fp8 v[8:11], a[64:65], a[8:9], 0   // 0000000038C8: D3F30008 1A021140
	v_mfma_f32_16x16x32_fp8_fp8 v[8:11], a[66:67], a[10:11], v[8:11]// 0000000038D0: D3F30008 1C221542
	buffer_load_dwordx4 a[216:219], v53, s[24:27], 0 offen     // 0000000038D8: E05C1000 8086D835
	v_mfma_f32_16x16x32_fp8_fp8 v[8:11], a[68:69], a[12:13], v[8:11]// 0000000038E0: D3F30008 1C221944
	v_mfma_f32_16x16x32_fp8_fp8 v[8:11], a[70:71], a[14:15], v[8:11]// 0000000038E8: D3F30008 1C221D46
	v_fma_f32 v72, v12, v4, v72                                // 0000000038F0: D1CB0048 0522090C
	v_fma_f32 v73, v13, v4, v73                                // 0000000038F8: D1CB0049 0526090D
	v_fma_f32 v74, v14, v4, v74                                // 000000003900: D1CB004A 052A090E
	v_fma_f32 v75, v15, v4, v75                                // 000000003908: D1CB004B 052E090F
	v_mfma_f32_16x16x32_fp8_fp8 v[12:15], a[72:73], a[8:9], 0  // 000000003910: D3F3000C 1A021148
	v_mfma_f32_16x16x32_fp8_fp8 v[12:15], a[74:75], a[10:11], v[12:15]// 000000003918: D3F3000C 1C32154A
	buffer_load_dwordx4 a[220:223], v53, s[24:27], 0 offen offset:1024// 000000003920: E05C1400 8086DC35
	v_mfma_f32_16x16x32_fp8_fp8 v[12:15], a[76:77], a[12:13], v[12:15]// 000000003928: D3F3000C 1C32194C
	v_mfma_f32_16x16x32_fp8_fp8 v[12:15], a[78:79], a[14:15], v[12:15]// 000000003930: D3F3000C 1C321D4E
	v_fma_f32 v84, v8, v6, v84                                 // 000000003938: D1CB0054 05520D08
	v_fma_f32 v85, v9, v6, v85                                 // 000000003940: D1CB0055 05560D09
	v_fma_f32 v86, v10, v6, v86                                // 000000003948: D1CB0056 055A0D0A
	v_fma_f32 v87, v11, v6, v87                                // 000000003950: D1CB0057 055E0D0B
	v_mul_f32_dpp v4, v24, v34 row_newbcast:2 row_mask:0xf bank_mask:0xf// 000000003958: 0A0844FA FF015218
	v_mfma_f32_16x16x32_fp8_fp8 v[8:11], a[80:81], a[8:9], 0   // 000000003960: D3F30008 1A021150
	v_mfma_f32_16x16x32_fp8_fp8 v[8:11], a[82:83], a[10:11], v[8:11]// 000000003968: D3F30008 1C221552
	buffer_load_dwordx4 a[224:227], v54, s[24:27], 0 offen     // 000000003970: E05C1000 8086E036
	v_mfma_f32_16x16x32_fp8_fp8 v[8:11], a[84:85], a[12:13], v[8:11]// 000000003978: D3F30008 1C221954
	v_mfma_f32_16x16x32_fp8_fp8 v[8:11], a[86:87], a[14:15], v[8:11]// 000000003980: D3F30008 1C221D56
	v_fma_f32 v96, v12, v6, v96                                // 000000003988: D1CB0060 05820D0C
	v_fma_f32 v97, v13, v6, v97                                // 000000003990: D1CB0061 05860D0D
	v_fma_f32 v98, v14, v6, v98                                // 000000003998: D1CB0062 058A0D0E
	v_fma_f32 v99, v15, v6, v99                                // 0000000039A0: D1CB0063 058E0D0F
	v_mfma_f32_16x16x32_fp8_fp8 v[12:15], a[88:89], a[8:9], 0  // 0000000039A8: D3F3000C 1A021158
	v_mfma_f32_16x16x32_fp8_fp8 v[12:15], a[90:91], a[10:11], v[12:15]// 0000000039B0: D3F3000C 1C32155A
	buffer_load_dwordx4 a[228:231], v54, s[24:27], 0 offen offset:1024// 0000000039B8: E05C1400 8086E436
	v_mfma_f32_16x16x32_fp8_fp8 v[12:15], a[92:93], a[12:13], v[12:15]// 0000000039C0: D3F3000C 1C32195C
	v_mfma_f32_16x16x32_fp8_fp8 v[12:15], a[94:95], a[14:15], v[12:15]// 0000000039C8: D3F3000C 1C321D5E
	v_fma_f32 v108, v8, v4, v108                               // 0000000039D0: D1CB006C 05B20908
	v_fma_f32 v109, v9, v4, v109                               // 0000000039D8: D1CB006D 05B60909
	v_fma_f32 v110, v10, v4, v110                              // 0000000039E0: D1CB006E 05BA090A
	v_fma_f32 v111, v11, v4, v111                              // 0000000039E8: D1CB006F 05BE090B
	v_mul_f32_dpp v6, v24, v34 row_newbcast:3 row_mask:0xf bank_mask:0xf// 0000000039F0: 0A0C44FA FF015318
	v_mfma_f32_16x16x32_fp8_fp8 v[8:11], a[96:97], a[8:9], 0   // 0000000039F8: D3F30008 1A021160
	v_mfma_f32_16x16x32_fp8_fp8 v[8:11], a[98:99], a[10:11], v[8:11]// 000000003A00: D3F30008 1C221562
	buffer_load_dwordx4 a[232:235], v55, s[24:27], 0 offen     // 000000003A08: E05C1000 8086E837
	v_mfma_f32_16x16x32_fp8_fp8 v[8:11], a[100:101], a[12:13], v[8:11]// 000000003A10: D3F30008 1C221964
	v_mfma_f32_16x16x32_fp8_fp8 v[8:11], a[102:103], a[14:15], v[8:11]// 000000003A18: D3F30008 1C221D66
	v_fma_f32 v120, v12, v4, v120                              // 000000003A20: D1CB0078 05E2090C
	v_fma_f32 v121, v13, v4, v121                              // 000000003A28: D1CB0079 05E6090D
	v_fma_f32 v122, v14, v4, v122                              // 000000003A30: D1CB007A 05EA090E
	v_fma_f32 v123, v15, v4, v123                              // 000000003A38: D1CB007B 05EE090F
	v_mfma_f32_16x16x32_fp8_fp8 v[12:15], a[104:105], a[8:9], 0// 000000003A40: D3F3000C 1A021168
	v_mfma_f32_16x16x32_fp8_fp8 v[12:15], a[106:107], a[10:11], v[12:15]// 000000003A48: D3F3000C 1C32156A
	buffer_load_dwordx4 a[236:239], v55, s[24:27], 0 offen offset:1024// 000000003A50: E05C1400 8086EC37
	buffer_load_dword v42, s[20:23], 0 offen lds               // 000000003A58: E0511000 8005002A
	s_add_u32 m0, 0x100, s50                                   // 000000003A60: 807C32FF 00000100
	v_mfma_f32_16x16x32_fp8_fp8 v[12:15], a[108:109], a[12:13], v[12:15]// 000000003A68: D3F3000C 1C32196C
	v_mfma_f32_16x16x32_fp8_fp8 v[12:15], a[110:111], a[14:15], v[12:15]// 000000003A70: D3F3000C 1C321D6E
	buffer_load_dword v43, s[20:23], 0 offen lds               // 000000003A78: E0511000 8005002B
	s_add_u32 m0, 0x200, s50                                   // 000000003A80: 807C32FF 00000200
	v_fma_f32 v132, v8, v6, v132                               // 000000003A88: D1CB0084 06120D08
	v_fma_f32 v133, v9, v6, v133                               // 000000003A90: D1CB0085 06160D09
	v_fma_f32 v134, v10, v6, v134                              // 000000003A98: D1CB0086 061A0D0A
	v_fma_f32 v135, v11, v6, v135                              // 000000003AA0: D1CB0087 061E0D0B
	v_mul_f32_dpp v4, v24, v35 row_newbcast:0 row_mask:0xf bank_mask:0xf// 000000003AA8: 0A0846FA FF015018
	v_mfma_f32_16x16x32_fp8_fp8 v[8:11], a[48:49], a[16:17], 0 // 000000003AB0: D3F30008 1A022130
	v_mfma_f32_16x16x32_fp8_fp8 v[8:11], a[50:51], a[18:19], v[8:11]// 000000003AB8: D3F30008 1C222532
	buffer_load_dword v44, s[20:23], 0 offen lds               // 000000003AC0: E0511000 8005002C
	s_add_u32 m0, 0x300, s50                                   // 000000003AC8: 807C32FF 00000300
	v_mfma_f32_16x16x32_fp8_fp8 v[8:11], a[52:53], a[20:21], v[8:11]// 000000003AD0: D3F30008 1C222934
	v_mfma_f32_16x16x32_fp8_fp8 v[8:11], a[54:55], a[22:23], v[8:11]// 000000003AD8: D3F30008 1C222D36
	buffer_load_dword v45, s[20:23], 0 offen lds               // 000000003AE0: E0511000 8005002D
	s_add_u32 m0, 0x400, s50                                   // 000000003AE8: 807C32FF 00000400
	v_fma_f32 v144, v12, v6, v144                              // 000000003AF0: D1CB0090 06420D0C
	v_fma_f32 v145, v13, v6, v145                              // 000000003AF8: D1CB0091 06460D0D
	v_fma_f32 v146, v14, v6, v146                              // 000000003B00: D1CB0092 064A0D0E
	v_fma_f32 v147, v15, v6, v147                              // 000000003B08: D1CB0093 064E0D0F
	v_mfma_f32_16x16x32_fp8_fp8 v[12:15], a[56:57], a[16:17], 0// 000000003B10: D3F3000C 1A022138
	v_mfma_f32_16x16x32_fp8_fp8 v[12:15], a[58:59], a[18:19], v[12:15]// 000000003B18: D3F3000C 1C32253A
	buffer_load_dword v46, s[20:23], 0 offen lds               // 000000003B20: E0511000 8005002E
	s_add_u32 m0, 0x500, s50                                   // 000000003B28: 807C32FF 00000500
	v_mfma_f32_16x16x32_fp8_fp8 v[12:15], a[60:61], a[20:21], v[12:15]// 000000003B30: D3F3000C 1C32293C
	v_mfma_f32_16x16x32_fp8_fp8 v[12:15], a[62:63], a[22:23], v[12:15]// 000000003B38: D3F3000C 1C322D3E
	buffer_load_dword v47, s[20:23], 0 offen lds               // 000000003B40: E0511000 8005002F
	s_add_u32 m0, 0, s48                                       // 000000003B48: 807C3080
	v_fma_f32 v64, v8, v4, v64                                 // 000000003B4C: D1CB0040 05020908
	v_fma_f32 v65, v9, v4, v65                                 // 000000003B54: D1CB0041 05060909
	v_fma_f32 v66, v10, v4, v66                                // 000000003B5C: D1CB0042 050A090A
	v_fma_f32 v67, v11, v4, v67                                // 000000003B64: D1CB0043 050E090B
	v_mul_f32_dpp v6, v24, v35 row_newbcast:1 row_mask:0xf bank_mask:0xf// 000000003B6C: 0A0C46FA FF015118
	v_mfma_f32_16x16x32_fp8_fp8 v[8:11], a[64:65], a[16:17], 0 // 000000003B74: D3F30008 1A022140
	v_mfma_f32_16x16x32_fp8_fp8 v[8:11], a[66:67], a[18:19], v[8:11]// 000000003B7C: D3F30008 1C222542
	buffer_load_dword v39, v30, s[28:31], 0 offen              // 000000003B84: E0501000 8007271E
	v_mfma_f32_16x16x32_fp8_fp8 v[8:11], a[68:69], a[20:21], v[8:11]// 000000003B8C: D3F30008 1C222944
	v_mfma_f32_16x16x32_fp8_fp8 v[8:11], a[70:71], a[22:23], v[8:11]// 000000003B94: D3F30008 1C222D46
	buffer_load_dword v40, v31, s[28:31], 0 offen              // 000000003B9C: E0501000 8007281F
	v_fma_f32 v76, v12, v4, v76                                // 000000003BA4: D1CB004C 0532090C
	v_fma_f32 v77, v13, v4, v77                                // 000000003BAC: D1CB004D 0536090D
	v_fma_f32 v78, v14, v4, v78                                // 000000003BB4: D1CB004E 053A090E
	v_fma_f32 v79, v15, v4, v79                                // 000000003BBC: D1CB004F 053E090F
	v_mfma_f32_16x16x32_fp8_fp8 v[12:15], a[72:73], a[16:17], 0// 000000003BC4: D3F3000C 1A022148
	v_mfma_f32_16x16x32_fp8_fp8 v[12:15], a[74:75], a[18:19], v[12:15]// 000000003BCC: D3F3000C 1C32254A
	buffer_load_dword v41, v32, s[28:31], 0 offen              // 000000003BD4: E0501000 80072920
	v_mfma_f32_16x16x32_fp8_fp8 v[12:15], a[76:77], a[20:21], v[12:15]// 000000003BDC: D3F3000C 1C32294C
	v_mfma_f32_16x16x32_fp8_fp8 v[12:15], a[78:79], a[22:23], v[12:15]// 000000003BE4: D3F3000C 1C322D4E
	v_fma_f32 v88, v8, v6, v88                                 // 000000003BEC: D1CB0058 05620D08
	v_fma_f32 v89, v9, v6, v89                                 // 000000003BF4: D1CB0059 05660D09
	v_fma_f32 v90, v10, v6, v90                                // 000000003BFC: D1CB005A 056A0D0A
	v_fma_f32 v91, v11, v6, v91                                // 000000003C04: D1CB005B 056E0D0B
	v_mul_f32_dpp v4, v24, v35 row_newbcast:2 row_mask:0xf bank_mask:0xf// 000000003C0C: 0A0846FA FF015218
	v_mfma_f32_16x16x32_fp8_fp8 v[8:11], a[80:81], a[16:17], 0 // 000000003C14: D3F30008 1A022150
	v_mfma_f32_16x16x32_fp8_fp8 v[8:11], a[82:83], a[18:19], v[8:11]// 000000003C1C: D3F30008 1C222552
	v_mfma_f32_16x16x32_fp8_fp8 v[8:11], a[84:85], a[20:21], v[8:11]// 000000003C24: D3F30008 1C222954
	v_mfma_f32_16x16x32_fp8_fp8 v[8:11], a[86:87], a[22:23], v[8:11]// 000000003C2C: D3F30008 1C222D56
	v_fma_f32 v100, v12, v6, v100                              // 000000003C34: D1CB0064 05920D0C
	v_fma_f32 v101, v13, v6, v101                              // 000000003C3C: D1CB0065 05960D0D
	v_fma_f32 v102, v14, v6, v102                              // 000000003C44: D1CB0066 059A0D0E
	v_fma_f32 v103, v15, v6, v103                              // 000000003C4C: D1CB0067 059E0D0F
	v_mfma_f32_16x16x32_fp8_fp8 v[12:15], a[88:89], a[16:17], 0// 000000003C54: D3F3000C 1A022158
	v_mfma_f32_16x16x32_fp8_fp8 v[12:15], a[90:91], a[18:19], v[12:15]// 000000003C5C: D3F3000C 1C32255A
	v_mfma_f32_16x16x32_fp8_fp8 v[12:15], a[92:93], a[20:21], v[12:15]// 000000003C64: D3F3000C 1C32295C
	v_mfma_f32_16x16x32_fp8_fp8 v[12:15], a[94:95], a[22:23], v[12:15]// 000000003C6C: D3F3000C 1C322D5E
	v_fma_f32 v112, v8, v4, v112                               // 000000003C74: D1CB0070 05C20908
	v_fma_f32 v113, v9, v4, v113                               // 000000003C7C: D1CB0071 05C60909
	v_fma_f32 v114, v10, v4, v114                              // 000000003C84: D1CB0072 05CA090A
	v_fma_f32 v115, v11, v4, v115                              // 000000003C8C: D1CB0073 05CE090B
	v_mul_f32_dpp v6, v24, v35 row_newbcast:3 row_mask:0xf bank_mask:0xf// 000000003C94: 0A0C46FA FF015318
	v_mfma_f32_16x16x32_fp8_fp8 v[8:11], a[96:97], a[16:17], 0 // 000000003C9C: D3F30008 1A022160
	v_mfma_f32_16x16x32_fp8_fp8 v[8:11], a[98:99], a[18:19], v[8:11]// 000000003CA4: D3F30008 1C222562
	v_mfma_f32_16x16x32_fp8_fp8 v[8:11], a[100:101], a[20:21], v[8:11]// 000000003CAC: D3F30008 1C222964
	v_mfma_f32_16x16x32_fp8_fp8 v[8:11], a[102:103], a[22:23], v[8:11]// 000000003CB4: D3F30008 1C222D66
	v_fma_f32 v124, v12, v4, v124                              // 000000003CBC: D1CB007C 05F2090C
	v_fma_f32 v125, v13, v4, v125                              // 000000003CC4: D1CB007D 05F6090D
	v_fma_f32 v126, v14, v4, v126                              // 000000003CCC: D1CB007E 05FA090E
	v_fma_f32 v127, v15, v4, v127                              // 000000003CD4: D1CB007F 05FE090F
	v_mfma_f32_16x16x32_fp8_fp8 v[12:15], a[104:105], a[16:17], 0// 000000003CDC: D3F3000C 1A022168
	v_mfma_f32_16x16x32_fp8_fp8 v[12:15], a[106:107], a[18:19], v[12:15]// 000000003CE4: D3F3000C 1C32256A
	v_mfma_f32_16x16x32_fp8_fp8 v[12:15], a[108:109], a[20:21], v[12:15]// 000000003CEC: D3F3000C 1C32296C
	v_mfma_f32_16x16x32_fp8_fp8 v[12:15], a[110:111], a[22:23], v[12:15]// 000000003CF4: D3F3000C 1C322D6E
	v_fma_f32 v136, v8, v6, v136                               // 000000003CFC: D1CB0088 06220D08
	v_fma_f32 v137, v9, v6, v137                               // 000000003D04: D1CB0089 06260D09
	v_fma_f32 v138, v10, v6, v138                              // 000000003D0C: D1CB008A 062A0D0A
	v_fma_f32 v139, v11, v6, v139                              // 000000003D14: D1CB008B 062E0D0B
	v_fma_f32 v148, v12, v6, v148                              // 000000003D1C: D1CB0094 06520D0C
	v_fma_f32 v149, v13, v6, v149                              // 000000003D24: D1CB0095 06560D0D
	v_fma_f32 v150, v14, v6, v150                              // 000000003D2C: D1CB0096 065A0D0E
	v_fma_f32 v151, v15, v6, v151                              // 000000003D34: D1CB0097 065E0D0F
	s_waitcnt vmcnt(26)                                        // 000000003D3C: BF8C4F7A
	s_barrier                                                  // 000000003D40: BF8A0000
	v_mul_f32_dpp v4, v27, v33 row_newbcast:0 row_mask:0xf bank_mask:0xf// 000000003D44: 0A0842FA FF01501B
	v_mfma_f32_16x16x32_fp8_fp8 v[8:11], a[112:113], a[0:1], 0 // 000000003D4C: D3F30008 1A020170
	buffer_load_dword v28, v23, s[32:35], 0 offen              // 000000003D54: E0501000 80081C17
	v_mfma_f32_16x16x32_fp8_fp8 v[8:11], a[114:115], a[2:3], v[8:11]// 000000003D5C: D3F30008 1C220572
	buffer_load_dwordx4 a[48:51], v48, s[84:87], 0 offen       // 000000003D64: E05C1000 80953030
	v_mfma_f32_16x16x32_fp8_fp8 v[8:11], a[116:117], a[4:5], v[8:11]// 000000003D6C: D3F30008 1C220974
	v_mfma_f32_16x16x32_fp8_fp8 v[8:11], a[118:119], a[6:7], v[8:11]// 000000003D74: D3F30008 1C220D76
	ds_read_b128 a[24:27], v2 offset:6272                      // 000000003D7C: DBFE1880 18000002
	ds_read_b128 a[28:31], v2 offset:6336                      // 000000003D84: DBFE18C0 1C000002
	v_mfma_f32_16x16x32_fp8_fp8 v[12:15], a[120:121], a[0:1], 0// 000000003D8C: D3F3000C 1A020178
	v_mfma_f32_16x16x32_fp8_fp8 v[12:15], a[122:123], a[2:3], v[12:15]// 000000003D94: D3F3000C 1C32057A
	buffer_load_dwordx4 a[52:55], v48, s[84:87], 0 offen offset:1024// 000000003D9C: E05C1400 80953430
	v_mfma_f32_16x16x32_fp8_fp8 v[12:15], a[124:125], a[4:5], v[12:15]// 000000003DA4: D3F3000C 1C32097C
	v_mfma_f32_16x16x32_fp8_fp8 v[12:15], a[126:127], a[6:7], v[12:15]// 000000003DAC: D3F3000C 1C320D7E
	ds_read_b128 a[32:35], v2 offset:6784                      // 000000003DB4: DBFE1A80 20000002
	ds_read_b128 a[36:39], v2 offset:6848                      // 000000003DBC: DBFE1AC0 24000002
	v_fma_f32 v152, v8, v4, v152                               // 000000003DC4: D1CB0098 06620908
	v_fma_f32 v153, v9, v4, v153                               // 000000003DCC: D1CB0099 06660909
	v_fma_f32 v154, v10, v4, v154                              // 000000003DD4: D1CB009A 066A090A
	v_fma_f32 v155, v11, v4, v155                              // 000000003DDC: D1CB009B 066E090B
	v_mul_f32_dpp v6, v27, v33 row_newbcast:1 row_mask:0xf bank_mask:0xf// 000000003DE4: 0A0C42FA FF01511B
	v_mfma_f32_16x16x32_fp8_fp8 v[8:11], a[128:129], a[0:1], 0 // 000000003DEC: D3F30008 1A020180
	v_mfma_f32_16x16x32_fp8_fp8 v[8:11], a[130:131], a[2:3], v[8:11]// 000000003DF4: D3F30008 1C220582
	buffer_load_dwordx4 a[56:59], v49, s[84:87], 0 offen       // 000000003DFC: E05C1000 80953831
	v_mfma_f32_16x16x32_fp8_fp8 v[8:11], a[132:133], a[4:5], v[8:11]// 000000003E04: D3F30008 1C220984
	v_mfma_f32_16x16x32_fp8_fp8 v[8:11], a[134:135], a[6:7], v[8:11]// 000000003E0C: D3F30008 1C220D86
	ds_read_b128 a[40:43], v2 offset:7296                      // 000000003E14: DBFE1C80 28000002
	ds_read_b128 a[44:47], v2 offset:7360                      // 000000003E1C: DBFE1CC0 2C000002
	v_fma_f32 v164, v12, v4, v164                              // 000000003E24: D1CB00A4 0692090C
	v_fma_f32 v165, v13, v4, v165                              // 000000003E2C: D1CB00A5 0696090D
	v_fma_f32 v166, v14, v4, v166                              // 000000003E34: D1CB00A6 069A090E
	v_fma_f32 v167, v15, v4, v167                              // 000000003E3C: D1CB00A7 069E090F
	v_mfma_f32_16x16x32_fp8_fp8 v[12:15], a[136:137], a[0:1], 0// 000000003E44: D3F3000C 1A020188
	v_mfma_f32_16x16x32_fp8_fp8 v[12:15], a[138:139], a[2:3], v[12:15]// 000000003E4C: D3F3000C 1C32058A
	buffer_load_dwordx4 a[60:63], v49, s[84:87], 0 offen offset:1024// 000000003E54: E05C1400 80953C31
	v_mfma_f32_16x16x32_fp8_fp8 v[12:15], a[140:141], a[4:5], v[12:15]// 000000003E5C: D3F3000C 1C32098C
	v_mfma_f32_16x16x32_fp8_fp8 v[12:15], a[142:143], a[6:7], v[12:15]// 000000003E64: D3F3000C 1C320D8E
	v_fma_f32 v176, v8, v6, v176                               // 000000003E6C: D1CB00B0 06C20D08
	v_fma_f32 v177, v9, v6, v177                               // 000000003E74: D1CB00B1 06C60D09
	v_fma_f32 v178, v10, v6, v178                              // 000000003E7C: D1CB00B2 06CA0D0A
	v_fma_f32 v179, v11, v6, v179                              // 000000003E84: D1CB00B3 06CE0D0B
	v_mul_f32_dpp v4, v27, v33 row_newbcast:2 row_mask:0xf bank_mask:0xf// 000000003E8C: 0A0842FA FF01521B
	v_mfma_f32_16x16x32_fp8_fp8 v[8:11], a[144:145], a[0:1], 0 // 000000003E94: D3F30008 1A020190
	v_mfma_f32_16x16x32_fp8_fp8 v[8:11], a[146:147], a[2:3], v[8:11]// 000000003E9C: D3F30008 1C220592
	buffer_load_dwordx4 a[64:67], v50, s[84:87], 0 offen       // 000000003EA4: E05C1000 80954032
	v_mfma_f32_16x16x32_fp8_fp8 v[8:11], a[148:149], a[4:5], v[8:11]// 000000003EAC: D3F30008 1C220994
	v_mfma_f32_16x16x32_fp8_fp8 v[8:11], a[150:151], a[6:7], v[8:11]// 000000003EB4: D3F30008 1C220D96
	v_fma_f32 v188, v12, v6, v188                              // 000000003EBC: D1CB00BC 06F20D0C
	v_fma_f32 v189, v13, v6, v189                              // 000000003EC4: D1CB00BD 06F60D0D
	v_fma_f32 v190, v14, v6, v190                              // 000000003ECC: D1CB00BE 06FA0D0E
	v_fma_f32 v191, v15, v6, v191                              // 000000003ED4: D1CB00BF 06FE0D0F
	v_mfma_f32_16x16x32_fp8_fp8 v[12:15], a[152:153], a[0:1], 0// 000000003EDC: D3F3000C 1A020198
	v_mfma_f32_16x16x32_fp8_fp8 v[12:15], a[154:155], a[2:3], v[12:15]// 000000003EE4: D3F3000C 1C32059A
	buffer_load_dwordx4 a[68:71], v50, s[84:87], 0 offen offset:1024// 000000003EEC: E05C1400 80954432
	v_mfma_f32_16x16x32_fp8_fp8 v[12:15], a[156:157], a[4:5], v[12:15]// 000000003EF4: D3F3000C 1C32099C
	v_mfma_f32_16x16x32_fp8_fp8 v[12:15], a[158:159], a[6:7], v[12:15]// 000000003EFC: D3F3000C 1C320D9E
	v_fma_f32 v200, v8, v4, v200                               // 000000003F04: D1CB00C8 07220908
	v_fma_f32 v201, v9, v4, v201                               // 000000003F0C: D1CB00C9 07260909
	v_fma_f32 v202, v10, v4, v202                              // 000000003F14: D1CB00CA 072A090A
	v_fma_f32 v203, v11, v4, v203                              // 000000003F1C: D1CB00CB 072E090B
	v_mul_f32_dpp v6, v27, v33 row_newbcast:3 row_mask:0xf bank_mask:0xf// 000000003F24: 0A0C42FA FF01531B
	v_mfma_f32_16x16x32_fp8_fp8 v[8:11], a[160:161], a[0:1], 0 // 000000003F2C: D3F30008 1A0201A0
	v_mfma_f32_16x16x32_fp8_fp8 v[8:11], a[162:163], a[2:3], v[8:11]// 000000003F34: D3F30008 1C2205A2
	buffer_load_dwordx4 a[72:75], v51, s[84:87], 0 offen       // 000000003F3C: E05C1000 80954833
	v_mfma_f32_16x16x32_fp8_fp8 v[8:11], a[164:165], a[4:5], v[8:11]// 000000003F44: D3F30008 1C2209A4
	v_mfma_f32_16x16x32_fp8_fp8 v[8:11], a[166:167], a[6:7], v[8:11]// 000000003F4C: D3F30008 1C220DA6
	v_fma_f32 v212, v12, v4, v212                              // 000000003F54: D1CB00D4 0752090C
	v_fma_f32 v213, v13, v4, v213                              // 000000003F5C: D1CB00D5 0756090D
	v_fma_f32 v214, v14, v4, v214                              // 000000003F64: D1CB00D6 075A090E
	v_fma_f32 v215, v15, v4, v215                              // 000000003F6C: D1CB00D7 075E090F
	v_mfma_f32_16x16x32_fp8_fp8 v[12:15], a[168:169], a[0:1], 0// 000000003F74: D3F3000C 1A0201A8
	v_mfma_f32_16x16x32_fp8_fp8 v[12:15], a[170:171], a[2:3], v[12:15]// 000000003F7C: D3F3000C 1C3205AA
	buffer_load_dwordx4 a[76:79], v51, s[84:87], 0 offen offset:1024// 000000003F84: E05C1400 80954C33
	v_mfma_f32_16x16x32_fp8_fp8 v[12:15], a[172:173], a[4:5], v[12:15]// 000000003F8C: D3F3000C 1C3209AC
	v_mfma_f32_16x16x32_fp8_fp8 v[12:15], a[174:175], a[6:7], v[12:15]// 000000003F94: D3F3000C 1C320DAE
	v_fma_f32 v224, v8, v6, v224                               // 000000003F9C: D1CB00E0 07820D08
	v_fma_f32 v225, v9, v6, v225                               // 000000003FA4: D1CB00E1 07860D09
	v_fma_f32 v226, v10, v6, v226                              // 000000003FAC: D1CB00E2 078A0D0A
	v_fma_f32 v227, v11, v6, v227                              // 000000003FB4: D1CB00E3 078E0D0B
	v_mul_f32_dpp v4, v27, v34 row_newbcast:0 row_mask:0xf bank_mask:0xf// 000000003FBC: 0A0844FA FF01501B
	v_mfma_f32_16x16x32_fp8_fp8 v[8:11], a[112:113], a[8:9], 0 // 000000003FC4: D3F30008 1A021170
	v_mfma_f32_16x16x32_fp8_fp8 v[8:11], a[114:115], a[10:11], v[8:11]// 000000003FCC: D3F30008 1C221572
	buffer_load_dwordx4 a[80:83], v52, s[84:87], 0 offen       // 000000003FD4: E05C1000 80955034
	v_mfma_f32_16x16x32_fp8_fp8 v[8:11], a[116:117], a[12:13], v[8:11]// 000000003FDC: D3F30008 1C221974
	v_mfma_f32_16x16x32_fp8_fp8 v[8:11], a[118:119], a[14:15], v[8:11]// 000000003FE4: D3F30008 1C221D76
	v_fma_f32 v236, v12, v6, v236                              // 000000003FEC: D1CB00EC 07B20D0C
	v_fma_f32 v237, v13, v6, v237                              // 000000003FF4: D1CB00ED 07B60D0D
	v_fma_f32 v238, v14, v6, v238                              // 000000003FFC: D1CB00EE 07BA0D0E
	v_fma_f32 v239, v15, v6, v239                              // 000000004004: D1CB00EF 07BE0D0F
	v_mfma_f32_16x16x32_fp8_fp8 v[12:15], a[120:121], a[8:9], 0// 00000000400C: D3F3000C 1A021178
	v_mfma_f32_16x16x32_fp8_fp8 v[12:15], a[122:123], a[10:11], v[12:15]// 000000004014: D3F3000C 1C32157A
	buffer_load_dwordx4 a[84:87], v52, s[84:87], 0 offen offset:1024// 00000000401C: E05C1400 80955434
	v_mfma_f32_16x16x32_fp8_fp8 v[12:15], a[124:125], a[12:13], v[12:15]// 000000004024: D3F3000C 1C32197C
	v_mfma_f32_16x16x32_fp8_fp8 v[12:15], a[126:127], a[14:15], v[12:15]// 00000000402C: D3F3000C 1C321D7E
	v_fma_f32 v156, v8, v4, v156                               // 000000004034: D1CB009C 06720908
	v_fma_f32 v157, v9, v4, v157                               // 00000000403C: D1CB009D 06760909
	v_fma_f32 v158, v10, v4, v158                              // 000000004044: D1CB009E 067A090A
	v_fma_f32 v159, v11, v4, v159                              // 00000000404C: D1CB009F 067E090B
	v_mul_f32_dpp v6, v27, v34 row_newbcast:1 row_mask:0xf bank_mask:0xf// 000000004054: 0A0C44FA FF01511B
	v_mfma_f32_16x16x32_fp8_fp8 v[8:11], a[128:129], a[8:9], 0 // 00000000405C: D3F30008 1A021180
	v_mfma_f32_16x16x32_fp8_fp8 v[8:11], a[130:131], a[10:11], v[8:11]// 000000004064: D3F30008 1C221582
	buffer_load_dwordx4 a[88:91], v53, s[84:87], 0 offen       // 00000000406C: E05C1000 80955835
	v_mfma_f32_16x16x32_fp8_fp8 v[8:11], a[132:133], a[12:13], v[8:11]// 000000004074: D3F30008 1C221984
	v_mfma_f32_16x16x32_fp8_fp8 v[8:11], a[134:135], a[14:15], v[8:11]// 00000000407C: D3F30008 1C221D86
	v_fma_f32 v168, v12, v4, v168                              // 000000004084: D1CB00A8 06A2090C
	v_fma_f32 v169, v13, v4, v169                              // 00000000408C: D1CB00A9 06A6090D
	v_fma_f32 v170, v14, v4, v170                              // 000000004094: D1CB00AA 06AA090E
	v_fma_f32 v171, v15, v4, v171                              // 00000000409C: D1CB00AB 06AE090F
	v_mfma_f32_16x16x32_fp8_fp8 v[12:15], a[136:137], a[8:9], 0// 0000000040A4: D3F3000C 1A021188
	v_mfma_f32_16x16x32_fp8_fp8 v[12:15], a[138:139], a[10:11], v[12:15]// 0000000040AC: D3F3000C 1C32158A
	buffer_load_dwordx4 a[92:95], v53, s[84:87], 0 offen offset:1024// 0000000040B4: E05C1400 80955C35
	v_mfma_f32_16x16x32_fp8_fp8 v[12:15], a[140:141], a[12:13], v[12:15]// 0000000040BC: D3F3000C 1C32198C
	v_mfma_f32_16x16x32_fp8_fp8 v[12:15], a[142:143], a[14:15], v[12:15]// 0000000040C4: D3F3000C 1C321D8E
	v_fma_f32 v180, v8, v6, v180                               // 0000000040CC: D1CB00B4 06D20D08
	v_fma_f32 v181, v9, v6, v181                               // 0000000040D4: D1CB00B5 06D60D09
	v_fma_f32 v182, v10, v6, v182                              // 0000000040DC: D1CB00B6 06DA0D0A
	v_fma_f32 v183, v11, v6, v183                              // 0000000040E4: D1CB00B7 06DE0D0B
	v_mul_f32_dpp v4, v27, v34 row_newbcast:2 row_mask:0xf bank_mask:0xf// 0000000040EC: 0A0844FA FF01521B
	v_mfma_f32_16x16x32_fp8_fp8 v[8:11], a[144:145], a[8:9], 0 // 0000000040F4: D3F30008 1A021190
	v_mfma_f32_16x16x32_fp8_fp8 v[8:11], a[146:147], a[10:11], v[8:11]// 0000000040FC: D3F30008 1C221592
	buffer_load_dwordx4 a[96:99], v54, s[84:87], 0 offen       // 000000004104: E05C1000 80956036
	v_mfma_f32_16x16x32_fp8_fp8 v[8:11], a[148:149], a[12:13], v[8:11]// 00000000410C: D3F30008 1C221994
	v_mfma_f32_16x16x32_fp8_fp8 v[8:11], a[150:151], a[14:15], v[8:11]// 000000004114: D3F30008 1C221D96
	v_fma_f32 v192, v12, v6, v192                              // 00000000411C: D1CB00C0 07020D0C
	v_fma_f32 v193, v13, v6, v193                              // 000000004124: D1CB00C1 07060D0D
	v_fma_f32 v194, v14, v6, v194                              // 00000000412C: D1CB00C2 070A0D0E
	v_fma_f32 v195, v15, v6, v195                              // 000000004134: D1CB00C3 070E0D0F
	v_mfma_f32_16x16x32_fp8_fp8 v[12:15], a[152:153], a[8:9], 0// 00000000413C: D3F3000C 1A021198
	v_mfma_f32_16x16x32_fp8_fp8 v[12:15], a[154:155], a[10:11], v[12:15]// 000000004144: D3F3000C 1C32159A
	buffer_load_dwordx4 a[100:103], v54, s[84:87], 0 offen offset:1024// 00000000414C: E05C1400 80956436
	v_mfma_f32_16x16x32_fp8_fp8 v[12:15], a[156:157], a[12:13], v[12:15]// 000000004154: D3F3000C 1C32199C
	v_mfma_f32_16x16x32_fp8_fp8 v[12:15], a[158:159], a[14:15], v[12:15]// 00000000415C: D3F3000C 1C321D9E
	v_fma_f32 v204, v8, v4, v204                               // 000000004164: D1CB00CC 07320908
	v_fma_f32 v205, v9, v4, v205                               // 00000000416C: D1CB00CD 07360909
	v_fma_f32 v206, v10, v4, v206                              // 000000004174: D1CB00CE 073A090A
	v_fma_f32 v207, v11, v4, v207                              // 00000000417C: D1CB00CF 073E090B
	v_mul_f32_dpp v6, v27, v34 row_newbcast:3 row_mask:0xf bank_mask:0xf// 000000004184: 0A0C44FA FF01531B
	v_mfma_f32_16x16x32_fp8_fp8 v[8:11], a[160:161], a[8:9], 0 // 00000000418C: D3F30008 1A0211A0
	v_mfma_f32_16x16x32_fp8_fp8 v[8:11], a[162:163], a[10:11], v[8:11]// 000000004194: D3F30008 1C2215A2
	buffer_load_dwordx4 a[104:107], v55, s[84:87], 0 offen     // 00000000419C: E05C1000 80956837
	v_mfma_f32_16x16x32_fp8_fp8 v[8:11], a[164:165], a[12:13], v[8:11]// 0000000041A4: D3F30008 1C2219A4
	v_mfma_f32_16x16x32_fp8_fp8 v[8:11], a[166:167], a[14:15], v[8:11]// 0000000041AC: D3F30008 1C221DA6
	v_fma_f32 v216, v12, v4, v216                              // 0000000041B4: D1CB00D8 0762090C
	v_fma_f32 v217, v13, v4, v217                              // 0000000041BC: D1CB00D9 0766090D
	v_fma_f32 v218, v14, v4, v218                              // 0000000041C4: D1CB00DA 076A090E
	v_fma_f32 v219, v15, v4, v219                              // 0000000041CC: D1CB00DB 076E090F
	v_mfma_f32_16x16x32_fp8_fp8 v[12:15], a[168:169], a[8:9], 0// 0000000041D4: D3F3000C 1A0211A8
	v_mfma_f32_16x16x32_fp8_fp8 v[12:15], a[170:171], a[10:11], v[12:15]// 0000000041DC: D3F3000C 1C3215AA
	buffer_load_dwordx4 a[108:111], v55, s[84:87], 0 offen offset:1024// 0000000041E4: E05C1400 80956C37
	v_mfma_f32_16x16x32_fp8_fp8 v[12:15], a[172:173], a[12:13], v[12:15]// 0000000041EC: D3F3000C 1C3219AC
	v_mfma_f32_16x16x32_fp8_fp8 v[12:15], a[174:175], a[14:15], v[12:15]// 0000000041F4: D3F3000C 1C321DAE
	v_fma_f32 v228, v8, v6, v228                               // 0000000041FC: D1CB00E4 07920D08
	v_fma_f32 v229, v9, v6, v229                               // 000000004204: D1CB00E5 07960D09
	v_fma_f32 v230, v10, v6, v230                              // 00000000420C: D1CB00E6 079A0D0A
	v_fma_f32 v231, v11, v6, v231                              // 000000004214: D1CB00E7 079E0D0B
	v_mul_f32_dpp v4, v27, v35 row_newbcast:0 row_mask:0xf bank_mask:0xf// 00000000421C: 0A0846FA FF01501B
	v_mfma_f32_16x16x32_fp8_fp8 v[8:11], a[112:113], a[16:17], 0// 000000004224: D3F30008 1A022170
	v_mfma_f32_16x16x32_fp8_fp8 v[8:11], a[114:115], a[18:19], v[8:11]// 00000000422C: D3F30008 1C222572
	v_mfma_f32_16x16x32_fp8_fp8 v[8:11], a[116:117], a[20:21], v[8:11]// 000000004234: D3F30008 1C222974
	v_mfma_f32_16x16x32_fp8_fp8 v[8:11], a[118:119], a[22:23], v[8:11]// 00000000423C: D3F30008 1C222D76
	v_fma_f32 v240, v12, v6, v240                              // 000000004244: D1CB00F0 07C20D0C
	v_fma_f32 v241, v13, v6, v241                              // 00000000424C: D1CB00F1 07C60D0D
	v_fma_f32 v242, v14, v6, v242                              // 000000004254: D1CB00F2 07CA0D0E
	v_fma_f32 v243, v15, v6, v243                              // 00000000425C: D1CB00F3 07CE0D0F
	v_mfma_f32_16x16x32_fp8_fp8 v[12:15], a[120:121], a[16:17], 0// 000000004264: D3F3000C 1A022178
	v_mfma_f32_16x16x32_fp8_fp8 v[12:15], a[122:123], a[18:19], v[12:15]// 00000000426C: D3F3000C 1C32257A
	v_mfma_f32_16x16x32_fp8_fp8 v[12:15], a[124:125], a[20:21], v[12:15]// 000000004274: D3F3000C 1C32297C
	v_mfma_f32_16x16x32_fp8_fp8 v[12:15], a[126:127], a[22:23], v[12:15]// 00000000427C: D3F3000C 1C322D7E
	v_fma_f32 v160, v8, v4, v160                               // 000000004284: D1CB00A0 06820908
	v_fma_f32 v161, v9, v4, v161                               // 00000000428C: D1CB00A1 06860909
	v_fma_f32 v162, v10, v4, v162                              // 000000004294: D1CB00A2 068A090A
	v_fma_f32 v163, v11, v4, v163                              // 00000000429C: D1CB00A3 068E090B
	v_mul_f32_dpp v6, v27, v35 row_newbcast:1 row_mask:0xf bank_mask:0xf// 0000000042A4: 0A0C46FA FF01511B
	v_mfma_f32_16x16x32_fp8_fp8 v[8:11], a[128:129], a[16:17], 0// 0000000042AC: D3F30008 1A022180
	v_mfma_f32_16x16x32_fp8_fp8 v[8:11], a[130:131], a[18:19], v[8:11]// 0000000042B4: D3F30008 1C222582
	v_mfma_f32_16x16x32_fp8_fp8 v[8:11], a[132:133], a[20:21], v[8:11]// 0000000042BC: D3F30008 1C222984
	v_mfma_f32_16x16x32_fp8_fp8 v[8:11], a[134:135], a[22:23], v[8:11]// 0000000042C4: D3F30008 1C222D86
	v_fma_f32 v172, v12, v4, v172                              // 0000000042CC: D1CB00AC 06B2090C
	v_fma_f32 v173, v13, v4, v173                              // 0000000042D4: D1CB00AD 06B6090D
	v_fma_f32 v174, v14, v4, v174                              // 0000000042DC: D1CB00AE 06BA090E
	v_fma_f32 v175, v15, v4, v175                              // 0000000042E4: D1CB00AF 06BE090F
	v_mfma_f32_16x16x32_fp8_fp8 v[12:15], a[136:137], a[16:17], 0// 0000000042EC: D3F3000C 1A022188
	v_mfma_f32_16x16x32_fp8_fp8 v[12:15], a[138:139], a[18:19], v[12:15]// 0000000042F4: D3F3000C 1C32258A
	v_mfma_f32_16x16x32_fp8_fp8 v[12:15], a[140:141], a[20:21], v[12:15]// 0000000042FC: D3F3000C 1C32298C
	v_mfma_f32_16x16x32_fp8_fp8 v[12:15], a[142:143], a[22:23], v[12:15]// 000000004304: D3F3000C 1C322D8E
	v_fma_f32 v184, v8, v6, v184                               // 00000000430C: D1CB00B8 06E20D08
	v_fma_f32 v185, v9, v6, v185                               // 000000004314: D1CB00B9 06E60D09
	v_fma_f32 v186, v10, v6, v186                              // 00000000431C: D1CB00BA 06EA0D0A
	v_fma_f32 v187, v11, v6, v187                              // 000000004324: D1CB00BB 06EE0D0B
	v_mul_f32_dpp v4, v27, v35 row_newbcast:2 row_mask:0xf bank_mask:0xf// 00000000432C: 0A0846FA FF01521B
	v_mfma_f32_16x16x32_fp8_fp8 v[8:11], a[144:145], a[16:17], 0// 000000004334: D3F30008 1A022190
	v_mfma_f32_16x16x32_fp8_fp8 v[8:11], a[146:147], a[18:19], v[8:11]// 00000000433C: D3F30008 1C222592
	v_mfma_f32_16x16x32_fp8_fp8 v[8:11], a[148:149], a[20:21], v[8:11]// 000000004344: D3F30008 1C222994
	v_mfma_f32_16x16x32_fp8_fp8 v[8:11], a[150:151], a[22:23], v[8:11]// 00000000434C: D3F30008 1C222D96
	v_fma_f32 v196, v12, v6, v196                              // 000000004354: D1CB00C4 07120D0C
	v_fma_f32 v197, v13, v6, v197                              // 00000000435C: D1CB00C5 07160D0D
	v_fma_f32 v198, v14, v6, v198                              // 000000004364: D1CB00C6 071A0D0E
	v_fma_f32 v199, v15, v6, v199                              // 00000000436C: D1CB00C7 071E0D0F
	v_mfma_f32_16x16x32_fp8_fp8 v[12:15], a[152:153], a[16:17], 0// 000000004374: D3F3000C 1A022198
	v_mfma_f32_16x16x32_fp8_fp8 v[12:15], a[154:155], a[18:19], v[12:15]// 00000000437C: D3F3000C 1C32259A
	v_mfma_f32_16x16x32_fp8_fp8 v[12:15], a[156:157], a[20:21], v[12:15]// 000000004384: D3F3000C 1C32299C
	v_mfma_f32_16x16x32_fp8_fp8 v[12:15], a[158:159], a[22:23], v[12:15]// 00000000438C: D3F3000C 1C322D9E
	v_fma_f32 v208, v8, v4, v208                               // 000000004394: D1CB00D0 07420908
	v_fma_f32 v209, v9, v4, v209                               // 00000000439C: D1CB00D1 07460909
	v_fma_f32 v210, v10, v4, v210                              // 0000000043A4: D1CB00D2 074A090A
	v_fma_f32 v211, v11, v4, v211                              // 0000000043AC: D1CB00D3 074E090B
	v_mul_f32_dpp v6, v27, v35 row_newbcast:3 row_mask:0xf bank_mask:0xf// 0000000043B4: 0A0C46FA FF01531B
	v_mfma_f32_16x16x32_fp8_fp8 v[8:11], a[160:161], a[16:17], 0// 0000000043BC: D3F30008 1A0221A0
	s_add_u32 s60, 0x180, s80                                  // 0000000043C4: 803C50FF 00000180
	s_cmp_lt_u32 s60, s81                                      // 0000000043CC: BF0A513C
	s_cselect_b32 s57, s57, 0                                  // 0000000043D0: 85398039
	s_cselect_b32 s3, s3, 0                                    // 0000000043D4: 85038003
	v_mfma_f32_16x16x32_fp8_fp8 v[8:11], a[162:163], a[18:19], v[8:11]// 0000000043D8: D3F30008 1C2225A2
	s_add_u32 s60, 0x100, s80                                  // 0000000043E0: 803C50FF 00000100
	s_cmp_lt_u32 s60, s81                                      // 0000000043E8: BF0A513C
	s_cselect_b32 s58, s58, 0                                  // 0000000043EC: 853A803A
	v_mfma_f32_16x16x32_fp8_fp8 v[8:11], a[164:165], a[20:21], v[8:11]// 0000000043F0: D3F30008 1C2229A4
	s_add_u32 s60, 0x100, s80                                  // 0000000043F8: 803C50FF 00000100
	s_cmp_lt_u32 s60, s81                                      // 000000004400: BF0A513C
	s_cselect_b32 s83, s83, 0                                  // 000000004404: 85538053
	s_cselect_b32 s4, s4, 0                                    // 000000004408: 85048004
	v_mfma_f32_16x16x32_fp8_fp8 v[8:11], a[166:167], a[22:23], v[8:11]// 00000000440C: D3F30008 1C222DA6
	s_add_u32 s24, s58, s24                                    // 000000004414: 8018183A
	s_addc_u32 s25, 0, s25                                     // 000000004418: 82191980
	v_fma_f32 v220, v12, v4, v220                              // 00000000441C: D1CB00DC 0772090C
	v_fma_f32 v221, v13, v4, v221                              // 000000004424: D1CB00DD 0776090D
	v_fma_f32 v222, v14, v4, v222                              // 00000000442C: D1CB00DE 077A090E
	v_fma_f32 v223, v15, v4, v223                              // 000000004434: D1CB00DF 077E090F
	v_mfma_f32_16x16x32_fp8_fp8 v[12:15], a[168:169], a[16:17], 0// 00000000443C: D3F3000C 1A0221A8
	s_add_u32 s20, s57, s20                                    // 000000004444: 80141439
	s_addc_u32 s21, 0, s21                                     // 000000004448: 82151580
	s_add_u32 s28, s3, s28                                     // 00000000444C: 801C1C03
	s_addc_u32 s29, 0, s29                                     // 000000004450: 821D1D80
	v_mfma_f32_16x16x32_fp8_fp8 v[12:15], a[170:171], a[18:19], v[12:15]// 000000004454: D3F3000C 1C3225AA
	s_add_u32 s84, s83, s84                                    // 00000000445C: 80545453
	s_addc_u32 s85, 0, s85                                     // 000000004460: 82555580
	v_mfma_f32_16x16x32_fp8_fp8 v[12:15], a[172:173], a[20:21], v[12:15]// 000000004464: D3F3000C 1C3229AC
	s_add_u32 s32, s4, s32                                     // 00000000446C: 80202004
	s_addc_u32 s33, 0, s33                                     // 000000004470: 82212180
	v_mfma_f32_16x16x32_fp8_fp8 v[12:15], a[174:175], a[22:23], v[12:15]// 000000004474: D3F3000C 1C322DAE
	v_fma_f32 v232, v8, v6, v232                               // 00000000447C: D1CB00E8 07A20D08
	v_fma_f32 v233, v9, v6, v233                               // 000000004484: D1CB00E9 07A60D09
	v_fma_f32 v234, v10, v6, v234                              // 00000000448C: D1CB00EA 07AA0D0A
	v_fma_f32 v235, v11, v6, v235                              // 000000004494: D1CB00EB 07AE0D0B
	v_fma_f32 v244, v12, v6, v244                              // 00000000449C: D1CB00F4 07D20D0C
	v_fma_f32 v245, v13, v6, v245                              // 0000000044A4: D1CB00F5 07D60D0D
	v_fma_f32 v246, v14, v6, v246                              // 0000000044AC: D1CB00F6 07DA0D0E
	v_fma_f32 v247, v15, v6, v247                              // 0000000044B4: D1CB00F7 07DE0D0F
	s_addk_i32 s80, 0x80                                       // 0000000044BC: B7500080
	s_cmp_lt_i32 s80, s81                                      // 0000000044C0: BF045150
	s_cbranch_scc0 label_195A                                  // 0000000044C4: BF8412A8
	s_waitcnt vmcnt(26) lgkmcnt(0)                             // 0000000044C8: BF8C407A
	v_mul_f32_dpp v4, v25, v36 row_newbcast:0 row_mask:0xf bank_mask:0xf// 0000000044CC: 0A0848FA FF015019
	v_mfma_f32_16x16x32_fp8_fp8 v[8:11], a[176:177], a[24:25], 0// 0000000044D4: D3F30008 1A0231B0
	buffer_load_dword v26, v22, s[32:35], 0 offen              // 0000000044DC: E0501000 80081A16
	v_mfma_f32_16x16x32_fp8_fp8 v[8:11], a[178:179], a[26:27], v[8:11]// 0000000044E4: D3F30008 1C2235B2
	buffer_load_dwordx4 a[112:115], v48, s[24:27], 0 offen     // 0000000044EC: E05C1000 80867030
	v_mfma_f32_16x16x32_fp8_fp8 v[8:11], a[180:181], a[28:29], v[8:11]// 0000000044F4: D3F30008 1C2239B4
	v_mfma_f32_16x16x32_fp8_fp8 v[8:11], a[182:183], a[30:31], v[8:11]// 0000000044FC: D3F30008 1C223DB6
	v_mfma_f32_16x16x32_fp8_fp8 v[12:15], a[184:185], a[24:25], 0// 000000004504: D3F3000C 1A0231B8
	v_mfma_f32_16x16x32_fp8_fp8 v[12:15], a[186:187], a[26:27], v[12:15]// 00000000450C: D3F3000C 1C3235BA
	buffer_load_dwordx4 a[116:119], v48, s[24:27], 0 offen offset:1024// 000000004514: E05C1400 80867430
	v_mfma_f32_16x16x32_fp8_fp8 v[12:15], a[188:189], a[28:29], v[12:15]// 00000000451C: D3F3000C 1C3239BC
	v_mfma_f32_16x16x32_fp8_fp8 v[12:15], a[190:191], a[30:31], v[12:15]// 000000004524: D3F3000C 1C323DBE
	v_fma_f32 v56, v8, v4, v56                                 // 00000000452C: D1CB0038 04E20908
	v_fma_f32 v57, v9, v4, v57                                 // 000000004534: D1CB0039 04E60909
	v_fma_f32 v58, v10, v4, v58                                // 00000000453C: D1CB003A 04EA090A
	v_fma_f32 v59, v11, v4, v59                                // 000000004544: D1CB003B 04EE090B
	v_mul_f32_dpp v6, v25, v36 row_newbcast:1 row_mask:0xf bank_mask:0xf// 00000000454C: 0A0C48FA FF015119
	v_mfma_f32_16x16x32_fp8_fp8 v[8:11], a[192:193], a[24:25], 0// 000000004554: D3F30008 1A0231C0
	v_mfma_f32_16x16x32_fp8_fp8 v[8:11], a[194:195], a[26:27], v[8:11]// 00000000455C: D3F30008 1C2235C2
	buffer_load_dwordx4 a[120:123], v49, s[24:27], 0 offen     // 000000004564: E05C1000 80867831
	v_mfma_f32_16x16x32_fp8_fp8 v[8:11], a[196:197], a[28:29], v[8:11]// 00000000456C: D3F30008 1C2239C4
	v_mfma_f32_16x16x32_fp8_fp8 v[8:11], a[198:199], a[30:31], v[8:11]// 000000004574: D3F30008 1C223DC6
	v_fma_f32 v68, v12, v4, v68                                // 00000000457C: D1CB0044 0512090C
	v_fma_f32 v69, v13, v4, v69                                // 000000004584: D1CB0045 0516090D
	v_fma_f32 v70, v14, v4, v70                                // 00000000458C: D1CB0046 051A090E
	v_fma_f32 v71, v15, v4, v71                                // 000000004594: D1CB0047 051E090F
	v_mfma_f32_16x16x32_fp8_fp8 v[12:15], a[200:201], a[24:25], 0// 00000000459C: D3F3000C 1A0231C8
	v_mfma_f32_16x16x32_fp8_fp8 v[12:15], a[202:203], a[26:27], v[12:15]// 0000000045A4: D3F3000C 1C3235CA
	buffer_load_dwordx4 a[124:127], v49, s[24:27], 0 offen offset:1024// 0000000045AC: E05C1400 80867C31
	v_mfma_f32_16x16x32_fp8_fp8 v[12:15], a[204:205], a[28:29], v[12:15]// 0000000045B4: D3F3000C 1C3239CC
	v_mfma_f32_16x16x32_fp8_fp8 v[12:15], a[206:207], a[30:31], v[12:15]// 0000000045BC: D3F3000C 1C323DCE
	v_fma_f32 v80, v8, v6, v80                                 // 0000000045C4: D1CB0050 05420D08
	v_fma_f32 v81, v9, v6, v81                                 // 0000000045CC: D1CB0051 05460D09
	v_fma_f32 v82, v10, v6, v82                                // 0000000045D4: D1CB0052 054A0D0A
	v_fma_f32 v83, v11, v6, v83                                // 0000000045DC: D1CB0053 054E0D0B
	v_mul_f32_dpp v4, v25, v36 row_newbcast:2 row_mask:0xf bank_mask:0xf// 0000000045E4: 0A0848FA FF015219
	v_mfma_f32_16x16x32_fp8_fp8 v[8:11], a[208:209], a[24:25], 0// 0000000045EC: D3F30008 1A0231D0
	v_mfma_f32_16x16x32_fp8_fp8 v[8:11], a[210:211], a[26:27], v[8:11]// 0000000045F4: D3F30008 1C2235D2
	buffer_load_dwordx4 a[128:131], v50, s[24:27], 0 offen     // 0000000045FC: E05C1000 80868032
	v_mfma_f32_16x16x32_fp8_fp8 v[8:11], a[212:213], a[28:29], v[8:11]// 000000004604: D3F30008 1C2239D4
	v_mfma_f32_16x16x32_fp8_fp8 v[8:11], a[214:215], a[30:31], v[8:11]// 00000000460C: D3F30008 1C223DD6
	v_fma_f32 v92, v12, v6, v92                                // 000000004614: D1CB005C 05720D0C
	v_fma_f32 v93, v13, v6, v93                                // 00000000461C: D1CB005D 05760D0D
	v_fma_f32 v94, v14, v6, v94                                // 000000004624: D1CB005E 057A0D0E
	v_fma_f32 v95, v15, v6, v95                                // 00000000462C: D1CB005F 057E0D0F
	v_mfma_f32_16x16x32_fp8_fp8 v[12:15], a[216:217], a[24:25], 0// 000000004634: D3F3000C 1A0231D8
	v_mfma_f32_16x16x32_fp8_fp8 v[12:15], a[218:219], a[26:27], v[12:15]// 00000000463C: D3F3000C 1C3235DA
	buffer_load_dwordx4 a[132:135], v50, s[24:27], 0 offen offset:1024// 000000004644: E05C1400 80868432
	v_mfma_f32_16x16x32_fp8_fp8 v[12:15], a[220:221], a[28:29], v[12:15]// 00000000464C: D3F3000C 1C3239DC
	v_mfma_f32_16x16x32_fp8_fp8 v[12:15], a[222:223], a[30:31], v[12:15]// 000000004654: D3F3000C 1C323DDE
	v_fma_f32 v104, v8, v4, v104                               // 00000000465C: D1CB0068 05A20908
	v_fma_f32 v105, v9, v4, v105                               // 000000004664: D1CB0069 05A60909
	v_fma_f32 v106, v10, v4, v106                              // 00000000466C: D1CB006A 05AA090A
	v_fma_f32 v107, v11, v4, v107                              // 000000004674: D1CB006B 05AE090B
	v_mul_f32_dpp v6, v25, v36 row_newbcast:3 row_mask:0xf bank_mask:0xf// 00000000467C: 0A0C48FA FF015319
	v_mfma_f32_16x16x32_fp8_fp8 v[8:11], a[224:225], a[24:25], 0// 000000004684: D3F30008 1A0231E0
	v_mfma_f32_16x16x32_fp8_fp8 v[8:11], a[226:227], a[26:27], v[8:11]// 00000000468C: D3F30008 1C2235E2
	buffer_load_dwordx4 a[136:139], v51, s[24:27], 0 offen     // 000000004694: E05C1000 80868833
	v_mfma_f32_16x16x32_fp8_fp8 v[8:11], a[228:229], a[28:29], v[8:11]// 00000000469C: D3F30008 1C2239E4
	v_mfma_f32_16x16x32_fp8_fp8 v[8:11], a[230:231], a[30:31], v[8:11]// 0000000046A4: D3F30008 1C223DE6
	v_fma_f32 v116, v12, v4, v116                              // 0000000046AC: D1CB0074 05D2090C
	v_fma_f32 v117, v13, v4, v117                              // 0000000046B4: D1CB0075 05D6090D
	v_fma_f32 v118, v14, v4, v118                              // 0000000046BC: D1CB0076 05DA090E
	v_fma_f32 v119, v15, v4, v119                              // 0000000046C4: D1CB0077 05DE090F
	v_mfma_f32_16x16x32_fp8_fp8 v[12:15], a[232:233], a[24:25], 0// 0000000046CC: D3F3000C 1A0231E8
	v_mfma_f32_16x16x32_fp8_fp8 v[12:15], a[234:235], a[26:27], v[12:15]// 0000000046D4: D3F3000C 1C3235EA
	buffer_load_dwordx4 a[140:143], v51, s[24:27], 0 offen offset:1024// 0000000046DC: E05C1400 80868C33
	v_mfma_f32_16x16x32_fp8_fp8 v[12:15], a[236:237], a[28:29], v[12:15]// 0000000046E4: D3F3000C 1C3239EC
	v_mfma_f32_16x16x32_fp8_fp8 v[12:15], a[238:239], a[30:31], v[12:15]// 0000000046EC: D3F3000C 1C323DEE
	v_fma_f32 v128, v8, v6, v128                               // 0000000046F4: D1CB0080 06020D08
	v_fma_f32 v129, v9, v6, v129                               // 0000000046FC: D1CB0081 06060D09
	v_fma_f32 v130, v10, v6, v130                              // 000000004704: D1CB0082 060A0D0A
	v_fma_f32 v131, v11, v6, v131                              // 00000000470C: D1CB0083 060E0D0B
	v_mul_f32_dpp v4, v25, v37 row_newbcast:0 row_mask:0xf bank_mask:0xf// 000000004714: 0A084AFA FF015019
	v_mfma_f32_16x16x32_fp8_fp8 v[8:11], a[176:177], a[32:33], 0// 00000000471C: D3F30008 1A0241B0
	v_mfma_f32_16x16x32_fp8_fp8 v[8:11], a[178:179], a[34:35], v[8:11]// 000000004724: D3F30008 1C2245B2
	buffer_load_dwordx4 a[144:147], v52, s[24:27], 0 offen     // 00000000472C: E05C1000 80869034
	v_mfma_f32_16x16x32_fp8_fp8 v[8:11], a[180:181], a[36:37], v[8:11]// 000000004734: D3F30008 1C2249B4
	v_mfma_f32_16x16x32_fp8_fp8 v[8:11], a[182:183], a[38:39], v[8:11]// 00000000473C: D3F30008 1C224DB6
	v_fma_f32 v140, v12, v6, v140                              // 000000004744: D1CB008C 06320D0C
	v_fma_f32 v141, v13, v6, v141                              // 00000000474C: D1CB008D 06360D0D
	v_fma_f32 v142, v14, v6, v142                              // 000000004754: D1CB008E 063A0D0E
	v_fma_f32 v143, v15, v6, v143                              // 00000000475C: D1CB008F 063E0D0F
	v_mfma_f32_16x16x32_fp8_fp8 v[12:15], a[184:185], a[32:33], 0// 000000004764: D3F3000C 1A0241B8
	v_mfma_f32_16x16x32_fp8_fp8 v[12:15], a[186:187], a[34:35], v[12:15]// 00000000476C: D3F3000C 1C3245BA
	buffer_load_dwordx4 a[148:151], v52, s[24:27], 0 offen offset:1024// 000000004774: E05C1400 80869434
	v_mfma_f32_16x16x32_fp8_fp8 v[12:15], a[188:189], a[36:37], v[12:15]// 00000000477C: D3F3000C 1C3249BC
	v_mfma_f32_16x16x32_fp8_fp8 v[12:15], a[190:191], a[38:39], v[12:15]// 000000004784: D3F3000C 1C324DBE
	v_fma_f32 v60, v8, v4, v60                                 // 00000000478C: D1CB003C 04F20908
	v_fma_f32 v61, v9, v4, v61                                 // 000000004794: D1CB003D 04F60909
	v_fma_f32 v62, v10, v4, v62                                // 00000000479C: D1CB003E 04FA090A
	v_fma_f32 v63, v11, v4, v63                                // 0000000047A4: D1CB003F 04FE090B
	v_mul_f32_dpp v6, v25, v37 row_newbcast:1 row_mask:0xf bank_mask:0xf// 0000000047AC: 0A0C4AFA FF015119
	v_mfma_f32_16x16x32_fp8_fp8 v[8:11], a[192:193], a[32:33], 0// 0000000047B4: D3F30008 1A0241C0
	v_mfma_f32_16x16x32_fp8_fp8 v[8:11], a[194:195], a[34:35], v[8:11]// 0000000047BC: D3F30008 1C2245C2
	buffer_load_dwordx4 a[152:155], v53, s[24:27], 0 offen     // 0000000047C4: E05C1000 80869835
	v_mfma_f32_16x16x32_fp8_fp8 v[8:11], a[196:197], a[36:37], v[8:11]// 0000000047CC: D3F30008 1C2249C4
	v_mfma_f32_16x16x32_fp8_fp8 v[8:11], a[198:199], a[38:39], v[8:11]// 0000000047D4: D3F30008 1C224DC6
	v_fma_f32 v72, v12, v4, v72                                // 0000000047DC: D1CB0048 0522090C
	v_fma_f32 v73, v13, v4, v73                                // 0000000047E4: D1CB0049 0526090D
	v_fma_f32 v74, v14, v4, v74                                // 0000000047EC: D1CB004A 052A090E
	v_fma_f32 v75, v15, v4, v75                                // 0000000047F4: D1CB004B 052E090F
	v_mfma_f32_16x16x32_fp8_fp8 v[12:15], a[200:201], a[32:33], 0// 0000000047FC: D3F3000C 1A0241C8
	v_mfma_f32_16x16x32_fp8_fp8 v[12:15], a[202:203], a[34:35], v[12:15]// 000000004804: D3F3000C 1C3245CA
	buffer_load_dwordx4 a[156:159], v53, s[24:27], 0 offen offset:1024// 00000000480C: E05C1400 80869C35
	v_mfma_f32_16x16x32_fp8_fp8 v[12:15], a[204:205], a[36:37], v[12:15]// 000000004814: D3F3000C 1C3249CC
	v_mfma_f32_16x16x32_fp8_fp8 v[12:15], a[206:207], a[38:39], v[12:15]// 00000000481C: D3F3000C 1C324DCE
	v_fma_f32 v84, v8, v6, v84                                 // 000000004824: D1CB0054 05520D08
	v_fma_f32 v85, v9, v6, v85                                 // 00000000482C: D1CB0055 05560D09
	v_fma_f32 v86, v10, v6, v86                                // 000000004834: D1CB0056 055A0D0A
	v_fma_f32 v87, v11, v6, v87                                // 00000000483C: D1CB0057 055E0D0B
	v_mul_f32_dpp v4, v25, v37 row_newbcast:2 row_mask:0xf bank_mask:0xf// 000000004844: 0A084AFA FF015219
	v_mfma_f32_16x16x32_fp8_fp8 v[8:11], a[208:209], a[32:33], 0// 00000000484C: D3F30008 1A0241D0
	v_mfma_f32_16x16x32_fp8_fp8 v[8:11], a[210:211], a[34:35], v[8:11]// 000000004854: D3F30008 1C2245D2
	buffer_load_dwordx4 a[160:163], v54, s[24:27], 0 offen     // 00000000485C: E05C1000 8086A036
	v_mfma_f32_16x16x32_fp8_fp8 v[8:11], a[212:213], a[36:37], v[8:11]// 000000004864: D3F30008 1C2249D4
	v_mfma_f32_16x16x32_fp8_fp8 v[8:11], a[214:215], a[38:39], v[8:11]// 00000000486C: D3F30008 1C224DD6
	v_fma_f32 v96, v12, v6, v96                                // 000000004874: D1CB0060 05820D0C
	v_fma_f32 v97, v13, v6, v97                                // 00000000487C: D1CB0061 05860D0D
	v_fma_f32 v98, v14, v6, v98                                // 000000004884: D1CB0062 058A0D0E
	v_fma_f32 v99, v15, v6, v99                                // 00000000488C: D1CB0063 058E0D0F
	v_mfma_f32_16x16x32_fp8_fp8 v[12:15], a[216:217], a[32:33], 0// 000000004894: D3F3000C 1A0241D8
	v_mfma_f32_16x16x32_fp8_fp8 v[12:15], a[218:219], a[34:35], v[12:15]// 00000000489C: D3F3000C 1C3245DA
	buffer_load_dwordx4 a[164:167], v54, s[24:27], 0 offen offset:1024// 0000000048A4: E05C1400 8086A436
	v_mfma_f32_16x16x32_fp8_fp8 v[12:15], a[220:221], a[36:37], v[12:15]// 0000000048AC: D3F3000C 1C3249DC
	v_mfma_f32_16x16x32_fp8_fp8 v[12:15], a[222:223], a[38:39], v[12:15]// 0000000048B4: D3F3000C 1C324DDE
	v_fma_f32 v108, v8, v4, v108                               // 0000000048BC: D1CB006C 05B20908
	v_fma_f32 v109, v9, v4, v109                               // 0000000048C4: D1CB006D 05B60909
	v_fma_f32 v110, v10, v4, v110                              // 0000000048CC: D1CB006E 05BA090A
	v_fma_f32 v111, v11, v4, v111                              // 0000000048D4: D1CB006F 05BE090B
	v_mul_f32_dpp v6, v25, v37 row_newbcast:3 row_mask:0xf bank_mask:0xf// 0000000048DC: 0A0C4AFA FF015319
	v_mfma_f32_16x16x32_fp8_fp8 v[8:11], a[224:225], a[32:33], 0// 0000000048E4: D3F30008 1A0241E0
	v_mfma_f32_16x16x32_fp8_fp8 v[8:11], a[226:227], a[34:35], v[8:11]// 0000000048EC: D3F30008 1C2245E2
	buffer_load_dwordx4 a[168:171], v55, s[24:27], 0 offen     // 0000000048F4: E05C1000 8086A837
	v_mfma_f32_16x16x32_fp8_fp8 v[8:11], a[228:229], a[36:37], v[8:11]// 0000000048FC: D3F30008 1C2249E4
	v_mfma_f32_16x16x32_fp8_fp8 v[8:11], a[230:231], a[38:39], v[8:11]// 000000004904: D3F30008 1C224DE6
	v_fma_f32 v120, v12, v4, v120                              // 00000000490C: D1CB0078 05E2090C
	v_fma_f32 v121, v13, v4, v121                              // 000000004914: D1CB0079 05E6090D
	v_fma_f32 v122, v14, v4, v122                              // 00000000491C: D1CB007A 05EA090E
	v_fma_f32 v123, v15, v4, v123                              // 000000004924: D1CB007B 05EE090F
	v_mfma_f32_16x16x32_fp8_fp8 v[12:15], a[232:233], a[32:33], 0// 00000000492C: D3F3000C 1A0241E8
	v_mfma_f32_16x16x32_fp8_fp8 v[12:15], a[234:235], a[34:35], v[12:15]// 000000004934: D3F3000C 1C3245EA
	buffer_load_dwordx4 a[172:175], v55, s[24:27], 0 offen offset:1024// 00000000493C: E05C1400 8086AC37
	buffer_load_dword v42, s[20:23], 0 offen lds               // 000000004944: E0511000 8005002A
	s_add_u32 m0, 0x100, s48                                   // 00000000494C: 807C30FF 00000100
	v_mfma_f32_16x16x32_fp8_fp8 v[12:15], a[236:237], a[36:37], v[12:15]// 000000004954: D3F3000C 1C3249EC
	v_mfma_f32_16x16x32_fp8_fp8 v[12:15], a[238:239], a[38:39], v[12:15]// 00000000495C: D3F3000C 1C324DEE
	buffer_load_dword v43, s[20:23], 0 offen lds               // 000000004964: E0511000 8005002B
	s_add_u32 m0, 0x200, s48                                   // 00000000496C: 807C30FF 00000200
	v_fma_f32 v132, v8, v6, v132                               // 000000004974: D1CB0084 06120D08
	v_fma_f32 v133, v9, v6, v133                               // 00000000497C: D1CB0085 06160D09
	v_fma_f32 v134, v10, v6, v134                              // 000000004984: D1CB0086 061A0D0A
	v_fma_f32 v135, v11, v6, v135                              // 00000000498C: D1CB0087 061E0D0B
	v_mul_f32_dpp v4, v25, v38 row_newbcast:0 row_mask:0xf bank_mask:0xf// 000000004994: 0A084CFA FF015019
	v_mfma_f32_16x16x32_fp8_fp8 v[8:11], a[176:177], a[40:41], 0// 00000000499C: D3F30008 1A0251B0
	v_mfma_f32_16x16x32_fp8_fp8 v[8:11], a[178:179], a[42:43], v[8:11]// 0000000049A4: D3F30008 1C2255B2
	buffer_load_dword v44, s[20:23], 0 offen lds               // 0000000049AC: E0511000 8005002C
	s_add_u32 m0, 0x300, s48                                   // 0000000049B4: 807C30FF 00000300
	v_mfma_f32_16x16x32_fp8_fp8 v[8:11], a[180:181], a[44:45], v[8:11]// 0000000049BC: D3F30008 1C2259B4
	v_mfma_f32_16x16x32_fp8_fp8 v[8:11], a[182:183], a[46:47], v[8:11]// 0000000049C4: D3F30008 1C225DB6
	buffer_load_dword v45, s[20:23], 0 offen lds               // 0000000049CC: E0511000 8005002D
	s_add_u32 m0, 0x400, s48                                   // 0000000049D4: 807C30FF 00000400
	v_fma_f32 v144, v12, v6, v144                              // 0000000049DC: D1CB0090 06420D0C
	v_fma_f32 v145, v13, v6, v145                              // 0000000049E4: D1CB0091 06460D0D
	v_fma_f32 v146, v14, v6, v146                              // 0000000049EC: D1CB0092 064A0D0E
	v_fma_f32 v147, v15, v6, v147                              // 0000000049F4: D1CB0093 064E0D0F
	v_mfma_f32_16x16x32_fp8_fp8 v[12:15], a[184:185], a[40:41], 0// 0000000049FC: D3F3000C 1A0251B8
	v_mfma_f32_16x16x32_fp8_fp8 v[12:15], a[186:187], a[42:43], v[12:15]// 000000004A04: D3F3000C 1C3255BA
	buffer_load_dword v46, s[20:23], 0 offen lds               // 000000004A0C: E0511000 8005002E
	s_add_u32 m0, 0x500, s48                                   // 000000004A14: 807C30FF 00000500
	v_mfma_f32_16x16x32_fp8_fp8 v[12:15], a[188:189], a[44:45], v[12:15]// 000000004A1C: D3F3000C 1C3259BC
	v_mfma_f32_16x16x32_fp8_fp8 v[12:15], a[190:191], a[46:47], v[12:15]// 000000004A24: D3F3000C 1C325DBE
	buffer_load_dword v47, s[20:23], 0 offen lds               // 000000004A2C: E0511000 8005002F
	s_add_u32 m0, 0, s49                                       // 000000004A34: 807C3180
	v_fma_f32 v64, v8, v4, v64                                 // 000000004A38: D1CB0040 05020908
	v_fma_f32 v65, v9, v4, v65                                 // 000000004A40: D1CB0041 05060909
	v_fma_f32 v66, v10, v4, v66                                // 000000004A48: D1CB0042 050A090A
	v_fma_f32 v67, v11, v4, v67                                // 000000004A50: D1CB0043 050E090B
	v_mul_f32_dpp v6, v25, v38 row_newbcast:1 row_mask:0xf bank_mask:0xf// 000000004A58: 0A0C4CFA FF015119
	v_mfma_f32_16x16x32_fp8_fp8 v[8:11], a[192:193], a[40:41], 0// 000000004A60: D3F30008 1A0251C0
	v_mfma_f32_16x16x32_fp8_fp8 v[8:11], a[194:195], a[42:43], v[8:11]// 000000004A68: D3F30008 1C2255C2
	buffer_load_dword v33, v30, s[28:31], 0 offen              // 000000004A70: E0501000 8007211E
	v_mfma_f32_16x16x32_fp8_fp8 v[8:11], a[196:197], a[44:45], v[8:11]// 000000004A78: D3F30008 1C2259C4
	v_mfma_f32_16x16x32_fp8_fp8 v[8:11], a[198:199], a[46:47], v[8:11]// 000000004A80: D3F30008 1C225DC6
	buffer_load_dword v34, v31, s[28:31], 0 offen              // 000000004A88: E0501000 8007221F
	v_fma_f32 v76, v12, v4, v76                                // 000000004A90: D1CB004C 0532090C
	v_fma_f32 v77, v13, v4, v77                                // 000000004A98: D1CB004D 0536090D
	v_fma_f32 v78, v14, v4, v78                                // 000000004AA0: D1CB004E 053A090E
	v_fma_f32 v79, v15, v4, v79                                // 000000004AA8: D1CB004F 053E090F
	v_mfma_f32_16x16x32_fp8_fp8 v[12:15], a[200:201], a[40:41], 0// 000000004AB0: D3F3000C 1A0251C8
	v_mfma_f32_16x16x32_fp8_fp8 v[12:15], a[202:203], a[42:43], v[12:15]// 000000004AB8: D3F3000C 1C3255CA
	buffer_load_dword v35, v32, s[28:31], 0 offen              // 000000004AC0: E0501000 80072320
	v_mfma_f32_16x16x32_fp8_fp8 v[12:15], a[204:205], a[44:45], v[12:15]// 000000004AC8: D3F3000C 1C3259CC
	v_mfma_f32_16x16x32_fp8_fp8 v[12:15], a[206:207], a[46:47], v[12:15]// 000000004AD0: D3F3000C 1C325DCE
	v_fma_f32 v88, v8, v6, v88                                 // 000000004AD8: D1CB0058 05620D08
	v_fma_f32 v89, v9, v6, v89                                 // 000000004AE0: D1CB0059 05660D09
	v_fma_f32 v90, v10, v6, v90                                // 000000004AE8: D1CB005A 056A0D0A
	v_fma_f32 v91, v11, v6, v91                                // 000000004AF0: D1CB005B 056E0D0B
	v_mul_f32_dpp v4, v25, v38 row_newbcast:2 row_mask:0xf bank_mask:0xf// 000000004AF8: 0A084CFA FF015219
	v_mfma_f32_16x16x32_fp8_fp8 v[8:11], a[208:209], a[40:41], 0// 000000004B00: D3F30008 1A0251D0
	v_mfma_f32_16x16x32_fp8_fp8 v[8:11], a[210:211], a[42:43], v[8:11]// 000000004B08: D3F30008 1C2255D2
	v_mfma_f32_16x16x32_fp8_fp8 v[8:11], a[212:213], a[44:45], v[8:11]// 000000004B10: D3F30008 1C2259D4
	v_mfma_f32_16x16x32_fp8_fp8 v[8:11], a[214:215], a[46:47], v[8:11]// 000000004B18: D3F30008 1C225DD6
	v_fma_f32 v100, v12, v6, v100                              // 000000004B20: D1CB0064 05920D0C
	v_fma_f32 v101, v13, v6, v101                              // 000000004B28: D1CB0065 05960D0D
	v_fma_f32 v102, v14, v6, v102                              // 000000004B30: D1CB0066 059A0D0E
	v_fma_f32 v103, v15, v6, v103                              // 000000004B38: D1CB0067 059E0D0F
	v_mfma_f32_16x16x32_fp8_fp8 v[12:15], a[216:217], a[40:41], 0// 000000004B40: D3F3000C 1A0251D8
	v_mfma_f32_16x16x32_fp8_fp8 v[12:15], a[218:219], a[42:43], v[12:15]// 000000004B48: D3F3000C 1C3255DA
	v_mfma_f32_16x16x32_fp8_fp8 v[12:15], a[220:221], a[44:45], v[12:15]// 000000004B50: D3F3000C 1C3259DC
	v_mfma_f32_16x16x32_fp8_fp8 v[12:15], a[222:223], a[46:47], v[12:15]// 000000004B58: D3F3000C 1C325DDE
	v_fma_f32 v112, v8, v4, v112                               // 000000004B60: D1CB0070 05C20908
	v_fma_f32 v113, v9, v4, v113                               // 000000004B68: D1CB0071 05C60909
	v_fma_f32 v114, v10, v4, v114                              // 000000004B70: D1CB0072 05CA090A
	v_fma_f32 v115, v11, v4, v115                              // 000000004B78: D1CB0073 05CE090B
	v_mul_f32_dpp v6, v25, v38 row_newbcast:3 row_mask:0xf bank_mask:0xf// 000000004B80: 0A0C4CFA FF015319
	v_mfma_f32_16x16x32_fp8_fp8 v[8:11], a[224:225], a[40:41], 0// 000000004B88: D3F30008 1A0251E0
	v_mfma_f32_16x16x32_fp8_fp8 v[8:11], a[226:227], a[42:43], v[8:11]// 000000004B90: D3F30008 1C2255E2
	v_mfma_f32_16x16x32_fp8_fp8 v[8:11], a[228:229], a[44:45], v[8:11]// 000000004B98: D3F30008 1C2259E4
	v_mfma_f32_16x16x32_fp8_fp8 v[8:11], a[230:231], a[46:47], v[8:11]// 000000004BA0: D3F30008 1C225DE6
	v_fma_f32 v124, v12, v4, v124                              // 000000004BA8: D1CB007C 05F2090C
	v_fma_f32 v125, v13, v4, v125                              // 000000004BB0: D1CB007D 05F6090D
	v_fma_f32 v126, v14, v4, v126                              // 000000004BB8: D1CB007E 05FA090E
	v_fma_f32 v127, v15, v4, v127                              // 000000004BC0: D1CB007F 05FE090F
	v_mfma_f32_16x16x32_fp8_fp8 v[12:15], a[232:233], a[40:41], 0// 000000004BC8: D3F3000C 1A0251E8
	v_mfma_f32_16x16x32_fp8_fp8 v[12:15], a[234:235], a[42:43], v[12:15]// 000000004BD0: D3F3000C 1C3255EA
	v_mfma_f32_16x16x32_fp8_fp8 v[12:15], a[236:237], a[44:45], v[12:15]// 000000004BD8: D3F3000C 1C3259EC
	v_mfma_f32_16x16x32_fp8_fp8 v[12:15], a[238:239], a[46:47], v[12:15]// 000000004BE0: D3F3000C 1C325DEE
	v_fma_f32 v136, v8, v6, v136                               // 000000004BE8: D1CB0088 06220D08
	v_fma_f32 v137, v9, v6, v137                               // 000000004BF0: D1CB0089 06260D09
	v_fma_f32 v138, v10, v6, v138                              // 000000004BF8: D1CB008A 062A0D0A
	v_fma_f32 v139, v11, v6, v139                              // 000000004C00: D1CB008B 062E0D0B
	v_fma_f32 v148, v12, v6, v148                              // 000000004C08: D1CB0094 06520D0C
	v_fma_f32 v149, v13, v6, v149                              // 000000004C10: D1CB0095 06560D0D
	v_fma_f32 v150, v14, v6, v150                              // 000000004C18: D1CB0096 065A0D0E
	v_fma_f32 v151, v15, v6, v151                              // 000000004C20: D1CB0097 065E0D0F
	s_waitcnt vmcnt(26)                                        // 000000004C28: BF8C4F7A
	s_barrier                                                  // 000000004C2C: BF8A0000
	v_mul_f32_dpp v4, v28, v36 row_newbcast:0 row_mask:0xf bank_mask:0xf// 000000004C30: 0A0848FA FF01501C
	v_mfma_f32_16x16x32_fp8_fp8 v[8:11], a[48:49], a[24:25], 0 // 000000004C38: D3F30008 1A023130
	buffer_load_dword v29, v23, s[32:35], 0 offen              // 000000004C40: E0501000 80081D17
	v_mfma_f32_16x16x32_fp8_fp8 v[8:11], a[50:51], a[26:27], v[8:11]// 000000004C48: D3F30008 1C223532
	buffer_load_dwordx4 a[176:179], v48, s[84:87], 0 offen     // 000000004C50: E05C1000 8095B030
	v_mfma_f32_16x16x32_fp8_fp8 v[8:11], a[52:53], a[28:29], v[8:11]// 000000004C58: D3F30008 1C223934
	v_mfma_f32_16x16x32_fp8_fp8 v[8:11], a[54:55], a[30:31], v[8:11]// 000000004C60: D3F30008 1C223D36
	ds_read_b128 a[0:3], v2 offset:12544                       // 000000004C68: DBFE3100 00000002
	ds_read_b128 a[4:7], v2 offset:12608                       // 000000004C70: DBFE3140 04000002
	v_mfma_f32_16x16x32_fp8_fp8 v[12:15], a[56:57], a[24:25], 0// 000000004C78: D3F3000C 1A023138
	v_mfma_f32_16x16x32_fp8_fp8 v[12:15], a[58:59], a[26:27], v[12:15]// 000000004C80: D3F3000C 1C32353A
	buffer_load_dwordx4 a[180:183], v48, s[84:87], 0 offen offset:1024// 000000004C88: E05C1400 8095B430
	v_mfma_f32_16x16x32_fp8_fp8 v[12:15], a[60:61], a[28:29], v[12:15]// 000000004C90: D3F3000C 1C32393C
	v_mfma_f32_16x16x32_fp8_fp8 v[12:15], a[62:63], a[30:31], v[12:15]// 000000004C98: D3F3000C 1C323D3E
	ds_read_b128 a[8:11], v2 offset:13056                      // 000000004CA0: DBFE3300 08000002
	ds_read_b128 a[12:15], v2 offset:13120                     // 000000004CA8: DBFE3340 0C000002
	v_fma_f32 v152, v8, v4, v152                               // 000000004CB0: D1CB0098 06620908
	v_fma_f32 v153, v9, v4, v153                               // 000000004CB8: D1CB0099 06660909
	v_fma_f32 v154, v10, v4, v154                              // 000000004CC0: D1CB009A 066A090A
	v_fma_f32 v155, v11, v4, v155                              // 000000004CC8: D1CB009B 066E090B
	v_mul_f32_dpp v6, v28, v36 row_newbcast:1 row_mask:0xf bank_mask:0xf// 000000004CD0: 0A0C48FA FF01511C
	v_mfma_f32_16x16x32_fp8_fp8 v[8:11], a[64:65], a[24:25], 0 // 000000004CD8: D3F30008 1A023140
	v_mfma_f32_16x16x32_fp8_fp8 v[8:11], a[66:67], a[26:27], v[8:11]// 000000004CE0: D3F30008 1C223542
	buffer_load_dwordx4 a[184:187], v49, s[84:87], 0 offen     // 000000004CE8: E05C1000 8095B831
	v_mfma_f32_16x16x32_fp8_fp8 v[8:11], a[68:69], a[28:29], v[8:11]// 000000004CF0: D3F30008 1C223944
	v_mfma_f32_16x16x32_fp8_fp8 v[8:11], a[70:71], a[30:31], v[8:11]// 000000004CF8: D3F30008 1C223D46
	ds_read_b128 a[16:19], v2 offset:13568                     // 000000004D00: DBFE3500 10000002
	ds_read_b128 a[20:23], v2 offset:13632                     // 000000004D08: DBFE3540 14000002
	v_fma_f32 v164, v12, v4, v164                              // 000000004D10: D1CB00A4 0692090C
	v_fma_f32 v165, v13, v4, v165                              // 000000004D18: D1CB00A5 0696090D
	v_fma_f32 v166, v14, v4, v166                              // 000000004D20: D1CB00A6 069A090E
	v_fma_f32 v167, v15, v4, v167                              // 000000004D28: D1CB00A7 069E090F
	v_mfma_f32_16x16x32_fp8_fp8 v[12:15], a[72:73], a[24:25], 0// 000000004D30: D3F3000C 1A023148
	v_mfma_f32_16x16x32_fp8_fp8 v[12:15], a[74:75], a[26:27], v[12:15]// 000000004D38: D3F3000C 1C32354A
	buffer_load_dwordx4 a[188:191], v49, s[84:87], 0 offen offset:1024// 000000004D40: E05C1400 8095BC31
	v_mfma_f32_16x16x32_fp8_fp8 v[12:15], a[76:77], a[28:29], v[12:15]// 000000004D48: D3F3000C 1C32394C
	v_mfma_f32_16x16x32_fp8_fp8 v[12:15], a[78:79], a[30:31], v[12:15]// 000000004D50: D3F3000C 1C323D4E
	v_fma_f32 v176, v8, v6, v176                               // 000000004D58: D1CB00B0 06C20D08
	v_fma_f32 v177, v9, v6, v177                               // 000000004D60: D1CB00B1 06C60D09
	v_fma_f32 v178, v10, v6, v178                              // 000000004D68: D1CB00B2 06CA0D0A
	v_fma_f32 v179, v11, v6, v179                              // 000000004D70: D1CB00B3 06CE0D0B
	v_mul_f32_dpp v4, v28, v36 row_newbcast:2 row_mask:0xf bank_mask:0xf// 000000004D78: 0A0848FA FF01521C
	v_mfma_f32_16x16x32_fp8_fp8 v[8:11], a[80:81], a[24:25], 0 // 000000004D80: D3F30008 1A023150
	v_mfma_f32_16x16x32_fp8_fp8 v[8:11], a[82:83], a[26:27], v[8:11]// 000000004D88: D3F30008 1C223552
	buffer_load_dwordx4 a[192:195], v50, s[84:87], 0 offen     // 000000004D90: E05C1000 8095C032
	v_mfma_f32_16x16x32_fp8_fp8 v[8:11], a[84:85], a[28:29], v[8:11]// 000000004D98: D3F30008 1C223954
	v_mfma_f32_16x16x32_fp8_fp8 v[8:11], a[86:87], a[30:31], v[8:11]// 000000004DA0: D3F30008 1C223D56
	v_fma_f32 v188, v12, v6, v188                              // 000000004DA8: D1CB00BC 06F20D0C
	v_fma_f32 v189, v13, v6, v189                              // 000000004DB0: D1CB00BD 06F60D0D
	v_fma_f32 v190, v14, v6, v190                              // 000000004DB8: D1CB00BE 06FA0D0E
	v_fma_f32 v191, v15, v6, v191                              // 000000004DC0: D1CB00BF 06FE0D0F
	v_mfma_f32_16x16x32_fp8_fp8 v[12:15], a[88:89], a[24:25], 0// 000000004DC8: D3F3000C 1A023158
	v_mfma_f32_16x16x32_fp8_fp8 v[12:15], a[90:91], a[26:27], v[12:15]// 000000004DD0: D3F3000C 1C32355A
	buffer_load_dwordx4 a[196:199], v50, s[84:87], 0 offen offset:1024// 000000004DD8: E05C1400 8095C432
	v_mfma_f32_16x16x32_fp8_fp8 v[12:15], a[92:93], a[28:29], v[12:15]// 000000004DE0: D3F3000C 1C32395C
	v_mfma_f32_16x16x32_fp8_fp8 v[12:15], a[94:95], a[30:31], v[12:15]// 000000004DE8: D3F3000C 1C323D5E
	v_fma_f32 v200, v8, v4, v200                               // 000000004DF0: D1CB00C8 07220908
	v_fma_f32 v201, v9, v4, v201                               // 000000004DF8: D1CB00C9 07260909
	v_fma_f32 v202, v10, v4, v202                              // 000000004E00: D1CB00CA 072A090A
	v_fma_f32 v203, v11, v4, v203                              // 000000004E08: D1CB00CB 072E090B
	v_mul_f32_dpp v6, v28, v36 row_newbcast:3 row_mask:0xf bank_mask:0xf// 000000004E10: 0A0C48FA FF01531C
	v_mfma_f32_16x16x32_fp8_fp8 v[8:11], a[96:97], a[24:25], 0 // 000000004E18: D3F30008 1A023160
	v_mfma_f32_16x16x32_fp8_fp8 v[8:11], a[98:99], a[26:27], v[8:11]// 000000004E20: D3F30008 1C223562
	buffer_load_dwordx4 a[200:203], v51, s[84:87], 0 offen     // 000000004E28: E05C1000 8095C833
	v_mfma_f32_16x16x32_fp8_fp8 v[8:11], a[100:101], a[28:29], v[8:11]// 000000004E30: D3F30008 1C223964
	v_mfma_f32_16x16x32_fp8_fp8 v[8:11], a[102:103], a[30:31], v[8:11]// 000000004E38: D3F30008 1C223D66
	v_fma_f32 v212, v12, v4, v212                              // 000000004E40: D1CB00D4 0752090C
	v_fma_f32 v213, v13, v4, v213                              // 000000004E48: D1CB00D5 0756090D
	v_fma_f32 v214, v14, v4, v214                              // 000000004E50: D1CB00D6 075A090E
	v_fma_f32 v215, v15, v4, v215                              // 000000004E58: D1CB00D7 075E090F
	v_mfma_f32_16x16x32_fp8_fp8 v[12:15], a[104:105], a[24:25], 0// 000000004E60: D3F3000C 1A023168
	v_mfma_f32_16x16x32_fp8_fp8 v[12:15], a[106:107], a[26:27], v[12:15]// 000000004E68: D3F3000C 1C32356A
	buffer_load_dwordx4 a[204:207], v51, s[84:87], 0 offen offset:1024// 000000004E70: E05C1400 8095CC33
	v_mfma_f32_16x16x32_fp8_fp8 v[12:15], a[108:109], a[28:29], v[12:15]// 000000004E78: D3F3000C 1C32396C
	v_mfma_f32_16x16x32_fp8_fp8 v[12:15], a[110:111], a[30:31], v[12:15]// 000000004E80: D3F3000C 1C323D6E
	v_fma_f32 v224, v8, v6, v224                               // 000000004E88: D1CB00E0 07820D08
	v_fma_f32 v225, v9, v6, v225                               // 000000004E90: D1CB00E1 07860D09
	v_fma_f32 v226, v10, v6, v226                              // 000000004E98: D1CB00E2 078A0D0A
	v_fma_f32 v227, v11, v6, v227                              // 000000004EA0: D1CB00E3 078E0D0B
	v_mul_f32_dpp v4, v28, v37 row_newbcast:0 row_mask:0xf bank_mask:0xf// 000000004EA8: 0A084AFA FF01501C
	v_mfma_f32_16x16x32_fp8_fp8 v[8:11], a[48:49], a[32:33], 0 // 000000004EB0: D3F30008 1A024130
	v_mfma_f32_16x16x32_fp8_fp8 v[8:11], a[50:51], a[34:35], v[8:11]// 000000004EB8: D3F30008 1C224532
	buffer_load_dwordx4 a[208:211], v52, s[84:87], 0 offen     // 000000004EC0: E05C1000 8095D034
	v_mfma_f32_16x16x32_fp8_fp8 v[8:11], a[52:53], a[36:37], v[8:11]// 000000004EC8: D3F30008 1C224934
	v_mfma_f32_16x16x32_fp8_fp8 v[8:11], a[54:55], a[38:39], v[8:11]// 000000004ED0: D3F30008 1C224D36
	v_fma_f32 v236, v12, v6, v236                              // 000000004ED8: D1CB00EC 07B20D0C
	v_fma_f32 v237, v13, v6, v237                              // 000000004EE0: D1CB00ED 07B60D0D
	v_fma_f32 v238, v14, v6, v238                              // 000000004EE8: D1CB00EE 07BA0D0E
	v_fma_f32 v239, v15, v6, v239                              // 000000004EF0: D1CB00EF 07BE0D0F
	v_mfma_f32_16x16x32_fp8_fp8 v[12:15], a[56:57], a[32:33], 0// 000000004EF8: D3F3000C 1A024138
	v_mfma_f32_16x16x32_fp8_fp8 v[12:15], a[58:59], a[34:35], v[12:15]// 000000004F00: D3F3000C 1C32453A
	buffer_load_dwordx4 a[212:215], v52, s[84:87], 0 offen offset:1024// 000000004F08: E05C1400 8095D434
	v_mfma_f32_16x16x32_fp8_fp8 v[12:15], a[60:61], a[36:37], v[12:15]// 000000004F10: D3F3000C 1C32493C
	v_mfma_f32_16x16x32_fp8_fp8 v[12:15], a[62:63], a[38:39], v[12:15]// 000000004F18: D3F3000C 1C324D3E
	v_fma_f32 v156, v8, v4, v156                               // 000000004F20: D1CB009C 06720908
	v_fma_f32 v157, v9, v4, v157                               // 000000004F28: D1CB009D 06760909
	v_fma_f32 v158, v10, v4, v158                              // 000000004F30: D1CB009E 067A090A
	v_fma_f32 v159, v11, v4, v159                              // 000000004F38: D1CB009F 067E090B
	v_mul_f32_dpp v6, v28, v37 row_newbcast:1 row_mask:0xf bank_mask:0xf// 000000004F40: 0A0C4AFA FF01511C
	v_mfma_f32_16x16x32_fp8_fp8 v[8:11], a[64:65], a[32:33], 0 // 000000004F48: D3F30008 1A024140
	v_mfma_f32_16x16x32_fp8_fp8 v[8:11], a[66:67], a[34:35], v[8:11]// 000000004F50: D3F30008 1C224542
	buffer_load_dwordx4 a[216:219], v53, s[84:87], 0 offen     // 000000004F58: E05C1000 8095D835
	v_mfma_f32_16x16x32_fp8_fp8 v[8:11], a[68:69], a[36:37], v[8:11]// 000000004F60: D3F30008 1C224944
	v_mfma_f32_16x16x32_fp8_fp8 v[8:11], a[70:71], a[38:39], v[8:11]// 000000004F68: D3F30008 1C224D46
	v_fma_f32 v168, v12, v4, v168                              // 000000004F70: D1CB00A8 06A2090C
	v_fma_f32 v169, v13, v4, v169                              // 000000004F78: D1CB00A9 06A6090D
	v_fma_f32 v170, v14, v4, v170                              // 000000004F80: D1CB00AA 06AA090E
	v_fma_f32 v171, v15, v4, v171                              // 000000004F88: D1CB00AB 06AE090F
	v_mfma_f32_16x16x32_fp8_fp8 v[12:15], a[72:73], a[32:33], 0// 000000004F90: D3F3000C 1A024148
	v_mfma_f32_16x16x32_fp8_fp8 v[12:15], a[74:75], a[34:35], v[12:15]// 000000004F98: D3F3000C 1C32454A
	buffer_load_dwordx4 a[220:223], v53, s[84:87], 0 offen offset:1024// 000000004FA0: E05C1400 8095DC35
	v_mfma_f32_16x16x32_fp8_fp8 v[12:15], a[76:77], a[36:37], v[12:15]// 000000004FA8: D3F3000C 1C32494C
	v_mfma_f32_16x16x32_fp8_fp8 v[12:15], a[78:79], a[38:39], v[12:15]// 000000004FB0: D3F3000C 1C324D4E
	v_fma_f32 v180, v8, v6, v180                               // 000000004FB8: D1CB00B4 06D20D08
	v_fma_f32 v181, v9, v6, v181                               // 000000004FC0: D1CB00B5 06D60D09
	v_fma_f32 v182, v10, v6, v182                              // 000000004FC8: D1CB00B6 06DA0D0A
	v_fma_f32 v183, v11, v6, v183                              // 000000004FD0: D1CB00B7 06DE0D0B
	v_mul_f32_dpp v4, v28, v37 row_newbcast:2 row_mask:0xf bank_mask:0xf// 000000004FD8: 0A084AFA FF01521C
	v_mfma_f32_16x16x32_fp8_fp8 v[8:11], a[80:81], a[32:33], 0 // 000000004FE0: D3F30008 1A024150
	v_mfma_f32_16x16x32_fp8_fp8 v[8:11], a[82:83], a[34:35], v[8:11]// 000000004FE8: D3F30008 1C224552
	buffer_load_dwordx4 a[224:227], v54, s[84:87], 0 offen     // 000000004FF0: E05C1000 8095E036
	v_mfma_f32_16x16x32_fp8_fp8 v[8:11], a[84:85], a[36:37], v[8:11]// 000000004FF8: D3F30008 1C224954
	v_mfma_f32_16x16x32_fp8_fp8 v[8:11], a[86:87], a[38:39], v[8:11]// 000000005000: D3F30008 1C224D56
	v_fma_f32 v192, v12, v6, v192                              // 000000005008: D1CB00C0 07020D0C
	v_fma_f32 v193, v13, v6, v193                              // 000000005010: D1CB00C1 07060D0D
	v_fma_f32 v194, v14, v6, v194                              // 000000005018: D1CB00C2 070A0D0E
	v_fma_f32 v195, v15, v6, v195                              // 000000005020: D1CB00C3 070E0D0F
	v_mfma_f32_16x16x32_fp8_fp8 v[12:15], a[88:89], a[32:33], 0// 000000005028: D3F3000C 1A024158
	v_mfma_f32_16x16x32_fp8_fp8 v[12:15], a[90:91], a[34:35], v[12:15]// 000000005030: D3F3000C 1C32455A
	buffer_load_dwordx4 a[228:231], v54, s[84:87], 0 offen offset:1024// 000000005038: E05C1400 8095E436
	v_mfma_f32_16x16x32_fp8_fp8 v[12:15], a[92:93], a[36:37], v[12:15]// 000000005040: D3F3000C 1C32495C
	v_mfma_f32_16x16x32_fp8_fp8 v[12:15], a[94:95], a[38:39], v[12:15]// 000000005048: D3F3000C 1C324D5E
	v_fma_f32 v204, v8, v4, v204                               // 000000005050: D1CB00CC 07320908
	v_fma_f32 v205, v9, v4, v205                               // 000000005058: D1CB00CD 07360909
	v_fma_f32 v206, v10, v4, v206                              // 000000005060: D1CB00CE 073A090A
	v_fma_f32 v207, v11, v4, v207                              // 000000005068: D1CB00CF 073E090B
	v_mul_f32_dpp v6, v28, v37 row_newbcast:3 row_mask:0xf bank_mask:0xf// 000000005070: 0A0C4AFA FF01531C
	v_mfma_f32_16x16x32_fp8_fp8 v[8:11], a[96:97], a[32:33], 0 // 000000005078: D3F30008 1A024160
	v_mfma_f32_16x16x32_fp8_fp8 v[8:11], a[98:99], a[34:35], v[8:11]// 000000005080: D3F30008 1C224562
	buffer_load_dwordx4 a[232:235], v55, s[84:87], 0 offen     // 000000005088: E05C1000 8095E837
	v_mfma_f32_16x16x32_fp8_fp8 v[8:11], a[100:101], a[36:37], v[8:11]// 000000005090: D3F30008 1C224964
	v_mfma_f32_16x16x32_fp8_fp8 v[8:11], a[102:103], a[38:39], v[8:11]// 000000005098: D3F30008 1C224D66
	v_fma_f32 v216, v12, v4, v216                              // 0000000050A0: D1CB00D8 0762090C
	v_fma_f32 v217, v13, v4, v217                              // 0000000050A8: D1CB00D9 0766090D
	v_fma_f32 v218, v14, v4, v218                              // 0000000050B0: D1CB00DA 076A090E
	v_fma_f32 v219, v15, v4, v219                              // 0000000050B8: D1CB00DB 076E090F
	v_mfma_f32_16x16x32_fp8_fp8 v[12:15], a[104:105], a[32:33], 0// 0000000050C0: D3F3000C 1A024168
	v_mfma_f32_16x16x32_fp8_fp8 v[12:15], a[106:107], a[34:35], v[12:15]// 0000000050C8: D3F3000C 1C32456A
	buffer_load_dwordx4 a[236:239], v55, s[84:87], 0 offen offset:1024// 0000000050D0: E05C1400 8095EC37
	v_mfma_f32_16x16x32_fp8_fp8 v[12:15], a[108:109], a[36:37], v[12:15]// 0000000050D8: D3F3000C 1C32496C
	v_mfma_f32_16x16x32_fp8_fp8 v[12:15], a[110:111], a[38:39], v[12:15]// 0000000050E0: D3F3000C 1C324D6E
	v_fma_f32 v228, v8, v6, v228                               // 0000000050E8: D1CB00E4 07920D08
	v_fma_f32 v229, v9, v6, v229                               // 0000000050F0: D1CB00E5 07960D09
	v_fma_f32 v230, v10, v6, v230                              // 0000000050F8: D1CB00E6 079A0D0A
	v_fma_f32 v231, v11, v6, v231                              // 000000005100: D1CB00E7 079E0D0B
	v_mul_f32_dpp v4, v28, v38 row_newbcast:0 row_mask:0xf bank_mask:0xf// 000000005108: 0A084CFA FF01501C
	v_mfma_f32_16x16x32_fp8_fp8 v[8:11], a[48:49], a[40:41], 0 // 000000005110: D3F30008 1A025130
	v_mfma_f32_16x16x32_fp8_fp8 v[8:11], a[50:51], a[42:43], v[8:11]// 000000005118: D3F30008 1C225532
	v_mfma_f32_16x16x32_fp8_fp8 v[8:11], a[52:53], a[44:45], v[8:11]// 000000005120: D3F30008 1C225934
	v_mfma_f32_16x16x32_fp8_fp8 v[8:11], a[54:55], a[46:47], v[8:11]// 000000005128: D3F30008 1C225D36
	v_fma_f32 v240, v12, v6, v240                              // 000000005130: D1CB00F0 07C20D0C
	v_fma_f32 v241, v13, v6, v241                              // 000000005138: D1CB00F1 07C60D0D
	v_fma_f32 v242, v14, v6, v242                              // 000000005140: D1CB00F2 07CA0D0E
	v_fma_f32 v243, v15, v6, v243                              // 000000005148: D1CB00F3 07CE0D0F
	v_mfma_f32_16x16x32_fp8_fp8 v[12:15], a[56:57], a[40:41], 0// 000000005150: D3F3000C 1A025138
	v_mfma_f32_16x16x32_fp8_fp8 v[12:15], a[58:59], a[42:43], v[12:15]// 000000005158: D3F3000C 1C32553A
	v_mfma_f32_16x16x32_fp8_fp8 v[12:15], a[60:61], a[44:45], v[12:15]// 000000005160: D3F3000C 1C32593C
	v_mfma_f32_16x16x32_fp8_fp8 v[12:15], a[62:63], a[46:47], v[12:15]// 000000005168: D3F3000C 1C325D3E
	v_fma_f32 v160, v8, v4, v160                               // 000000005170: D1CB00A0 06820908
	v_fma_f32 v161, v9, v4, v161                               // 000000005178: D1CB00A1 06860909
	v_fma_f32 v162, v10, v4, v162                              // 000000005180: D1CB00A2 068A090A
	v_fma_f32 v163, v11, v4, v163                              // 000000005188: D1CB00A3 068E090B
	v_mul_f32_dpp v6, v28, v38 row_newbcast:1 row_mask:0xf bank_mask:0xf// 000000005190: 0A0C4CFA FF01511C
	v_mfma_f32_16x16x32_fp8_fp8 v[8:11], a[64:65], a[40:41], 0 // 000000005198: D3F30008 1A025140
	v_mfma_f32_16x16x32_fp8_fp8 v[8:11], a[66:67], a[42:43], v[8:11]// 0000000051A0: D3F30008 1C225542
	v_mfma_f32_16x16x32_fp8_fp8 v[8:11], a[68:69], a[44:45], v[8:11]// 0000000051A8: D3F30008 1C225944
	v_mfma_f32_16x16x32_fp8_fp8 v[8:11], a[70:71], a[46:47], v[8:11]// 0000000051B0: D3F30008 1C225D46
	v_fma_f32 v172, v12, v4, v172                              // 0000000051B8: D1CB00AC 06B2090C
	v_fma_f32 v173, v13, v4, v173                              // 0000000051C0: D1CB00AD 06B6090D
	v_fma_f32 v174, v14, v4, v174                              // 0000000051C8: D1CB00AE 06BA090E
	v_fma_f32 v175, v15, v4, v175                              // 0000000051D0: D1CB00AF 06BE090F
	v_mfma_f32_16x16x32_fp8_fp8 v[12:15], a[72:73], a[40:41], 0// 0000000051D8: D3F3000C 1A025148
	v_mfma_f32_16x16x32_fp8_fp8 v[12:15], a[74:75], a[42:43], v[12:15]// 0000000051E0: D3F3000C 1C32554A
	v_mfma_f32_16x16x32_fp8_fp8 v[12:15], a[76:77], a[44:45], v[12:15]// 0000000051E8: D3F3000C 1C32594C
	v_mfma_f32_16x16x32_fp8_fp8 v[12:15], a[78:79], a[46:47], v[12:15]// 0000000051F0: D3F3000C 1C325D4E
	v_fma_f32 v184, v8, v6, v184                               // 0000000051F8: D1CB00B8 06E20D08
	v_fma_f32 v185, v9, v6, v185                               // 000000005200: D1CB00B9 06E60D09
	v_fma_f32 v186, v10, v6, v186                              // 000000005208: D1CB00BA 06EA0D0A
	v_fma_f32 v187, v11, v6, v187                              // 000000005210: D1CB00BB 06EE0D0B
	v_mul_f32_dpp v4, v28, v38 row_newbcast:2 row_mask:0xf bank_mask:0xf// 000000005218: 0A084CFA FF01521C
	v_mfma_f32_16x16x32_fp8_fp8 v[8:11], a[80:81], a[40:41], 0 // 000000005220: D3F30008 1A025150
	v_mfma_f32_16x16x32_fp8_fp8 v[8:11], a[82:83], a[42:43], v[8:11]// 000000005228: D3F30008 1C225552
	v_mfma_f32_16x16x32_fp8_fp8 v[8:11], a[84:85], a[44:45], v[8:11]// 000000005230: D3F30008 1C225954
	v_mfma_f32_16x16x32_fp8_fp8 v[8:11], a[86:87], a[46:47], v[8:11]// 000000005238: D3F30008 1C225D56
	v_fma_f32 v196, v12, v6, v196                              // 000000005240: D1CB00C4 07120D0C
	v_fma_f32 v197, v13, v6, v197                              // 000000005248: D1CB00C5 07160D0D
	v_fma_f32 v198, v14, v6, v198                              // 000000005250: D1CB00C6 071A0D0E
	v_fma_f32 v199, v15, v6, v199                              // 000000005258: D1CB00C7 071E0D0F
	v_mfma_f32_16x16x32_fp8_fp8 v[12:15], a[88:89], a[40:41], 0// 000000005260: D3F3000C 1A025158
	v_mfma_f32_16x16x32_fp8_fp8 v[12:15], a[90:91], a[42:43], v[12:15]// 000000005268: D3F3000C 1C32555A
	v_mfma_f32_16x16x32_fp8_fp8 v[12:15], a[92:93], a[44:45], v[12:15]// 000000005270: D3F3000C 1C32595C
	v_mfma_f32_16x16x32_fp8_fp8 v[12:15], a[94:95], a[46:47], v[12:15]// 000000005278: D3F3000C 1C325D5E
	v_fma_f32 v208, v8, v4, v208                               // 000000005280: D1CB00D0 07420908
	v_fma_f32 v209, v9, v4, v209                               // 000000005288: D1CB00D1 07460909
	v_fma_f32 v210, v10, v4, v210                              // 000000005290: D1CB00D2 074A090A
	v_fma_f32 v211, v11, v4, v211                              // 000000005298: D1CB00D3 074E090B
	v_mul_f32_dpp v6, v28, v38 row_newbcast:3 row_mask:0xf bank_mask:0xf// 0000000052A0: 0A0C4CFA FF01531C
	v_mfma_f32_16x16x32_fp8_fp8 v[8:11], a[96:97], a[40:41], 0 // 0000000052A8: D3F30008 1A025160
	s_add_u32 s60, 0x180, s80                                  // 0000000052B0: 803C50FF 00000180
	s_cmp_lt_u32 s60, s81                                      // 0000000052B8: BF0A513C
	s_cselect_b32 s57, s57, 0                                  // 0000000052BC: 85398039
	s_cselect_b32 s3, s3, 0                                    // 0000000052C0: 85038003
	v_mfma_f32_16x16x32_fp8_fp8 v[8:11], a[98:99], a[42:43], v[8:11]// 0000000052C4: D3F30008 1C225562
	s_add_u32 s60, 0x100, s80                                  // 0000000052CC: 803C50FF 00000100
	s_cmp_lt_u32 s60, s81                                      // 0000000052D4: BF0A513C
	s_cselect_b32 s58, s58, 0                                  // 0000000052D8: 853A803A
	v_mfma_f32_16x16x32_fp8_fp8 v[8:11], a[100:101], a[44:45], v[8:11]// 0000000052DC: D3F30008 1C225964
	s_add_u32 s60, 0x100, s80                                  // 0000000052E4: 803C50FF 00000100
	s_cmp_lt_u32 s60, s81                                      // 0000000052EC: BF0A513C
	s_cselect_b32 s83, s83, 0                                  // 0000000052F0: 85538053
	s_cselect_b32 s4, s4, 0                                    // 0000000052F4: 85048004
	v_mfma_f32_16x16x32_fp8_fp8 v[8:11], a[102:103], a[46:47], v[8:11]// 0000000052F8: D3F30008 1C225D66
	s_add_u32 s24, s58, s24                                    // 000000005300: 8018183A
	s_addc_u32 s25, 0, s25                                     // 000000005304: 82191980
	v_fma_f32 v220, v12, v4, v220                              // 000000005308: D1CB00DC 0772090C
	v_fma_f32 v221, v13, v4, v221                              // 000000005310: D1CB00DD 0776090D
	v_fma_f32 v222, v14, v4, v222                              // 000000005318: D1CB00DE 077A090E
	v_fma_f32 v223, v15, v4, v223                              // 000000005320: D1CB00DF 077E090F
	v_mfma_f32_16x16x32_fp8_fp8 v[12:15], a[104:105], a[40:41], 0// 000000005328: D3F3000C 1A025168
	s_add_u32 s20, s57, s20                                    // 000000005330: 80141439
	s_addc_u32 s21, 0, s21                                     // 000000005334: 82151580
	s_add_u32 s28, s3, s28                                     // 000000005338: 801C1C03
	s_addc_u32 s29, 0, s29                                     // 00000000533C: 821D1D80
	v_mfma_f32_16x16x32_fp8_fp8 v[12:15], a[106:107], a[42:43], v[12:15]// 000000005340: D3F3000C 1C32556A
	s_add_u32 s84, s83, s84                                    // 000000005348: 80545453
	s_addc_u32 s85, 0, s85                                     // 00000000534C: 82555580
	v_mfma_f32_16x16x32_fp8_fp8 v[12:15], a[108:109], a[44:45], v[12:15]// 000000005350: D3F3000C 1C32596C
	s_add_u32 s32, s4, s32                                     // 000000005358: 80202004
	s_addc_u32 s33, 0, s33                                     // 00000000535C: 82212180
	v_mfma_f32_16x16x32_fp8_fp8 v[12:15], a[110:111], a[46:47], v[12:15]// 000000005360: D3F3000C 1C325D6E
	v_fma_f32 v232, v8, v6, v232                               // 000000005368: D1CB00E8 07A20D08
	v_fma_f32 v233, v9, v6, v233                               // 000000005370: D1CB00E9 07A60D09
	v_fma_f32 v234, v10, v6, v234                              // 000000005378: D1CB00EA 07AA0D0A
	v_fma_f32 v235, v11, v6, v235                              // 000000005380: D1CB00EB 07AE0D0B
	v_fma_f32 v244, v12, v6, v244                              // 000000005388: D1CB00F4 07D20D0C
	v_fma_f32 v245, v13, v6, v245                              // 000000005390: D1CB00F5 07D60D0D
	v_fma_f32 v246, v14, v6, v246                              // 000000005398: D1CB00F6 07DA0D0E
	v_fma_f32 v247, v15, v6, v247                              // 0000000053A0: D1CB00F7 07DE0D0F
	s_addk_i32 s80, 0x80                                       // 0000000053A8: B7500080
	s_cmp_lt_i32 s80, s81                                      // 0000000053AC: BF045150
	s_cbranch_scc0 label_195A                                  // 0000000053B0: BF840EED
	s_waitcnt vmcnt(26) lgkmcnt(0)                             // 0000000053B4: BF8C407A
	v_mul_f32_dpp v4, v26, v39 row_newbcast:0 row_mask:0xf bank_mask:0xf// 0000000053B8: 0A084EFA FF01501A
	v_mfma_f32_16x16x32_fp8_fp8 v[8:11], a[112:113], a[0:1], 0 // 0000000053C0: D3F30008 1A020170
	buffer_load_dword v24, v22, s[32:35], 0 offen              // 0000000053C8: E0501000 80081816
	v_mfma_f32_16x16x32_fp8_fp8 v[8:11], a[114:115], a[2:3], v[8:11]// 0000000053D0: D3F30008 1C220572
	buffer_load_dwordx4 a[48:51], v48, s[24:27], 0 offen       // 0000000053D8: E05C1000 80863030
	v_mfma_f32_16x16x32_fp8_fp8 v[8:11], a[116:117], a[4:5], v[8:11]// 0000000053E0: D3F30008 1C220974
	v_mfma_f32_16x16x32_fp8_fp8 v[8:11], a[118:119], a[6:7], v[8:11]// 0000000053E8: D3F30008 1C220D76
	v_mfma_f32_16x16x32_fp8_fp8 v[12:15], a[120:121], a[0:1], 0// 0000000053F0: D3F3000C 1A020178
	v_mfma_f32_16x16x32_fp8_fp8 v[12:15], a[122:123], a[2:3], v[12:15]// 0000000053F8: D3F3000C 1C32057A
	buffer_load_dwordx4 a[52:55], v48, s[24:27], 0 offen offset:1024// 000000005400: E05C1400 80863430
	v_mfma_f32_16x16x32_fp8_fp8 v[12:15], a[124:125], a[4:5], v[12:15]// 000000005408: D3F3000C 1C32097C
	v_mfma_f32_16x16x32_fp8_fp8 v[12:15], a[126:127], a[6:7], v[12:15]// 000000005410: D3F3000C 1C320D7E
	v_fma_f32 v56, v8, v4, v56                                 // 000000005418: D1CB0038 04E20908
	v_fma_f32 v57, v9, v4, v57                                 // 000000005420: D1CB0039 04E60909
	v_fma_f32 v58, v10, v4, v58                                // 000000005428: D1CB003A 04EA090A
	v_fma_f32 v59, v11, v4, v59                                // 000000005430: D1CB003B 04EE090B
	v_mul_f32_dpp v6, v26, v39 row_newbcast:1 row_mask:0xf bank_mask:0xf// 000000005438: 0A0C4EFA FF01511A
	v_mfma_f32_16x16x32_fp8_fp8 v[8:11], a[128:129], a[0:1], 0 // 000000005440: D3F30008 1A020180
	v_mfma_f32_16x16x32_fp8_fp8 v[8:11], a[130:131], a[2:3], v[8:11]// 000000005448: D3F30008 1C220582
	buffer_load_dwordx4 a[56:59], v49, s[24:27], 0 offen       // 000000005450: E05C1000 80863831
	v_mfma_f32_16x16x32_fp8_fp8 v[8:11], a[132:133], a[4:5], v[8:11]// 000000005458: D3F30008 1C220984
	v_mfma_f32_16x16x32_fp8_fp8 v[8:11], a[134:135], a[6:7], v[8:11]// 000000005460: D3F30008 1C220D86
	v_fma_f32 v68, v12, v4, v68                                // 000000005468: D1CB0044 0512090C
	v_fma_f32 v69, v13, v4, v69                                // 000000005470: D1CB0045 0516090D
	v_fma_f32 v70, v14, v4, v70                                // 000000005478: D1CB0046 051A090E
	v_fma_f32 v71, v15, v4, v71                                // 000000005480: D1CB0047 051E090F
	v_mfma_f32_16x16x32_fp8_fp8 v[12:15], a[136:137], a[0:1], 0// 000000005488: D3F3000C 1A020188
	v_mfma_f32_16x16x32_fp8_fp8 v[12:15], a[138:139], a[2:3], v[12:15]// 000000005490: D3F3000C 1C32058A
	buffer_load_dwordx4 a[60:63], v49, s[24:27], 0 offen offset:1024// 000000005498: E05C1400 80863C31
	v_mfma_f32_16x16x32_fp8_fp8 v[12:15], a[140:141], a[4:5], v[12:15]// 0000000054A0: D3F3000C 1C32098C
	v_mfma_f32_16x16x32_fp8_fp8 v[12:15], a[142:143], a[6:7], v[12:15]// 0000000054A8: D3F3000C 1C320D8E
	v_fma_f32 v80, v8, v6, v80                                 // 0000000054B0: D1CB0050 05420D08
	v_fma_f32 v81, v9, v6, v81                                 // 0000000054B8: D1CB0051 05460D09
	v_fma_f32 v82, v10, v6, v82                                // 0000000054C0: D1CB0052 054A0D0A
	v_fma_f32 v83, v11, v6, v83                                // 0000000054C8: D1CB0053 054E0D0B
	v_mul_f32_dpp v4, v26, v39 row_newbcast:2 row_mask:0xf bank_mask:0xf// 0000000054D0: 0A084EFA FF01521A
	v_mfma_f32_16x16x32_fp8_fp8 v[8:11], a[144:145], a[0:1], 0 // 0000000054D8: D3F30008 1A020190
	v_mfma_f32_16x16x32_fp8_fp8 v[8:11], a[146:147], a[2:3], v[8:11]// 0000000054E0: D3F30008 1C220592
	buffer_load_dwordx4 a[64:67], v50, s[24:27], 0 offen       // 0000000054E8: E05C1000 80864032
	v_mfma_f32_16x16x32_fp8_fp8 v[8:11], a[148:149], a[4:5], v[8:11]// 0000000054F0: D3F30008 1C220994
	v_mfma_f32_16x16x32_fp8_fp8 v[8:11], a[150:151], a[6:7], v[8:11]// 0000000054F8: D3F30008 1C220D96
	v_fma_f32 v92, v12, v6, v92                                // 000000005500: D1CB005C 05720D0C
	v_fma_f32 v93, v13, v6, v93                                // 000000005508: D1CB005D 05760D0D
	v_fma_f32 v94, v14, v6, v94                                // 000000005510: D1CB005E 057A0D0E
	v_fma_f32 v95, v15, v6, v95                                // 000000005518: D1CB005F 057E0D0F
	v_mfma_f32_16x16x32_fp8_fp8 v[12:15], a[152:153], a[0:1], 0// 000000005520: D3F3000C 1A020198
	v_mfma_f32_16x16x32_fp8_fp8 v[12:15], a[154:155], a[2:3], v[12:15]// 000000005528: D3F3000C 1C32059A
	buffer_load_dwordx4 a[68:71], v50, s[24:27], 0 offen offset:1024// 000000005530: E05C1400 80864432
	v_mfma_f32_16x16x32_fp8_fp8 v[12:15], a[156:157], a[4:5], v[12:15]// 000000005538: D3F3000C 1C32099C
	v_mfma_f32_16x16x32_fp8_fp8 v[12:15], a[158:159], a[6:7], v[12:15]// 000000005540: D3F3000C 1C320D9E
	v_fma_f32 v104, v8, v4, v104                               // 000000005548: D1CB0068 05A20908
	v_fma_f32 v105, v9, v4, v105                               // 000000005550: D1CB0069 05A60909
	v_fma_f32 v106, v10, v4, v106                              // 000000005558: D1CB006A 05AA090A
	v_fma_f32 v107, v11, v4, v107                              // 000000005560: D1CB006B 05AE090B
	v_mul_f32_dpp v6, v26, v39 row_newbcast:3 row_mask:0xf bank_mask:0xf// 000000005568: 0A0C4EFA FF01531A
	v_mfma_f32_16x16x32_fp8_fp8 v[8:11], a[160:161], a[0:1], 0 // 000000005570: D3F30008 1A0201A0
	v_mfma_f32_16x16x32_fp8_fp8 v[8:11], a[162:163], a[2:3], v[8:11]// 000000005578: D3F30008 1C2205A2
	buffer_load_dwordx4 a[72:75], v51, s[24:27], 0 offen       // 000000005580: E05C1000 80864833
	v_mfma_f32_16x16x32_fp8_fp8 v[8:11], a[164:165], a[4:5], v[8:11]// 000000005588: D3F30008 1C2209A4
	v_mfma_f32_16x16x32_fp8_fp8 v[8:11], a[166:167], a[6:7], v[8:11]// 000000005590: D3F30008 1C220DA6
	v_fma_f32 v116, v12, v4, v116                              // 000000005598: D1CB0074 05D2090C
	v_fma_f32 v117, v13, v4, v117                              // 0000000055A0: D1CB0075 05D6090D
	v_fma_f32 v118, v14, v4, v118                              // 0000000055A8: D1CB0076 05DA090E
	v_fma_f32 v119, v15, v4, v119                              // 0000000055B0: D1CB0077 05DE090F
	v_mfma_f32_16x16x32_fp8_fp8 v[12:15], a[168:169], a[0:1], 0// 0000000055B8: D3F3000C 1A0201A8
	v_mfma_f32_16x16x32_fp8_fp8 v[12:15], a[170:171], a[2:3], v[12:15]// 0000000055C0: D3F3000C 1C3205AA
	buffer_load_dwordx4 a[76:79], v51, s[24:27], 0 offen offset:1024// 0000000055C8: E05C1400 80864C33
	v_mfma_f32_16x16x32_fp8_fp8 v[12:15], a[172:173], a[4:5], v[12:15]// 0000000055D0: D3F3000C 1C3209AC
	v_mfma_f32_16x16x32_fp8_fp8 v[12:15], a[174:175], a[6:7], v[12:15]// 0000000055D8: D3F3000C 1C320DAE
	v_fma_f32 v128, v8, v6, v128                               // 0000000055E0: D1CB0080 06020D08
	v_fma_f32 v129, v9, v6, v129                               // 0000000055E8: D1CB0081 06060D09
	v_fma_f32 v130, v10, v6, v130                              // 0000000055F0: D1CB0082 060A0D0A
	v_fma_f32 v131, v11, v6, v131                              // 0000000055F8: D1CB0083 060E0D0B
	v_mul_f32_dpp v4, v26, v40 row_newbcast:0 row_mask:0xf bank_mask:0xf// 000000005600: 0A0850FA FF01501A
	v_mfma_f32_16x16x32_fp8_fp8 v[8:11], a[112:113], a[8:9], 0 // 000000005608: D3F30008 1A021170
	v_mfma_f32_16x16x32_fp8_fp8 v[8:11], a[114:115], a[10:11], v[8:11]// 000000005610: D3F30008 1C221572
	buffer_load_dwordx4 a[80:83], v52, s[24:27], 0 offen       // 000000005618: E05C1000 80865034
	v_mfma_f32_16x16x32_fp8_fp8 v[8:11], a[116:117], a[12:13], v[8:11]// 000000005620: D3F30008 1C221974
	v_mfma_f32_16x16x32_fp8_fp8 v[8:11], a[118:119], a[14:15], v[8:11]// 000000005628: D3F30008 1C221D76
	v_fma_f32 v140, v12, v6, v140                              // 000000005630: D1CB008C 06320D0C
	v_fma_f32 v141, v13, v6, v141                              // 000000005638: D1CB008D 06360D0D
	v_fma_f32 v142, v14, v6, v142                              // 000000005640: D1CB008E 063A0D0E
	v_fma_f32 v143, v15, v6, v143                              // 000000005648: D1CB008F 063E0D0F
	v_mfma_f32_16x16x32_fp8_fp8 v[12:15], a[120:121], a[8:9], 0// 000000005650: D3F3000C 1A021178
	v_mfma_f32_16x16x32_fp8_fp8 v[12:15], a[122:123], a[10:11], v[12:15]// 000000005658: D3F3000C 1C32157A
	buffer_load_dwordx4 a[84:87], v52, s[24:27], 0 offen offset:1024// 000000005660: E05C1400 80865434
	v_mfma_f32_16x16x32_fp8_fp8 v[12:15], a[124:125], a[12:13], v[12:15]// 000000005668: D3F3000C 1C32197C
	v_mfma_f32_16x16x32_fp8_fp8 v[12:15], a[126:127], a[14:15], v[12:15]// 000000005670: D3F3000C 1C321D7E
	v_fma_f32 v60, v8, v4, v60                                 // 000000005678: D1CB003C 04F20908
	v_fma_f32 v61, v9, v4, v61                                 // 000000005680: D1CB003D 04F60909
	v_fma_f32 v62, v10, v4, v62                                // 000000005688: D1CB003E 04FA090A
	v_fma_f32 v63, v11, v4, v63                                // 000000005690: D1CB003F 04FE090B
	v_mul_f32_dpp v6, v26, v40 row_newbcast:1 row_mask:0xf bank_mask:0xf// 000000005698: 0A0C50FA FF01511A
	v_mfma_f32_16x16x32_fp8_fp8 v[8:11], a[128:129], a[8:9], 0 // 0000000056A0: D3F30008 1A021180
	v_mfma_f32_16x16x32_fp8_fp8 v[8:11], a[130:131], a[10:11], v[8:11]// 0000000056A8: D3F30008 1C221582
	buffer_load_dwordx4 a[88:91], v53, s[24:27], 0 offen       // 0000000056B0: E05C1000 80865835
	v_mfma_f32_16x16x32_fp8_fp8 v[8:11], a[132:133], a[12:13], v[8:11]// 0000000056B8: D3F30008 1C221984
	v_mfma_f32_16x16x32_fp8_fp8 v[8:11], a[134:135], a[14:15], v[8:11]// 0000000056C0: D3F30008 1C221D86
	v_fma_f32 v72, v12, v4, v72                                // 0000000056C8: D1CB0048 0522090C
	v_fma_f32 v73, v13, v4, v73                                // 0000000056D0: D1CB0049 0526090D
	v_fma_f32 v74, v14, v4, v74                                // 0000000056D8: D1CB004A 052A090E
	v_fma_f32 v75, v15, v4, v75                                // 0000000056E0: D1CB004B 052E090F
	v_mfma_f32_16x16x32_fp8_fp8 v[12:15], a[136:137], a[8:9], 0// 0000000056E8: D3F3000C 1A021188
	v_mfma_f32_16x16x32_fp8_fp8 v[12:15], a[138:139], a[10:11], v[12:15]// 0000000056F0: D3F3000C 1C32158A
	buffer_load_dwordx4 a[92:95], v53, s[24:27], 0 offen offset:1024// 0000000056F8: E05C1400 80865C35
	v_mfma_f32_16x16x32_fp8_fp8 v[12:15], a[140:141], a[12:13], v[12:15]// 000000005700: D3F3000C 1C32198C
	v_mfma_f32_16x16x32_fp8_fp8 v[12:15], a[142:143], a[14:15], v[12:15]// 000000005708: D3F3000C 1C321D8E
	v_fma_f32 v84, v8, v6, v84                                 // 000000005710: D1CB0054 05520D08
	v_fma_f32 v85, v9, v6, v85                                 // 000000005718: D1CB0055 05560D09
	v_fma_f32 v86, v10, v6, v86                                // 000000005720: D1CB0056 055A0D0A
	v_fma_f32 v87, v11, v6, v87                                // 000000005728: D1CB0057 055E0D0B
	v_mul_f32_dpp v4, v26, v40 row_newbcast:2 row_mask:0xf bank_mask:0xf// 000000005730: 0A0850FA FF01521A
	v_mfma_f32_16x16x32_fp8_fp8 v[8:11], a[144:145], a[8:9], 0 // 000000005738: D3F30008 1A021190
	v_mfma_f32_16x16x32_fp8_fp8 v[8:11], a[146:147], a[10:11], v[8:11]// 000000005740: D3F30008 1C221592
	buffer_load_dwordx4 a[96:99], v54, s[24:27], 0 offen       // 000000005748: E05C1000 80866036
	v_mfma_f32_16x16x32_fp8_fp8 v[8:11], a[148:149], a[12:13], v[8:11]// 000000005750: D3F30008 1C221994
	v_mfma_f32_16x16x32_fp8_fp8 v[8:11], a[150:151], a[14:15], v[8:11]// 000000005758: D3F30008 1C221D96
	v_fma_f32 v96, v12, v6, v96                                // 000000005760: D1CB0060 05820D0C
	v_fma_f32 v97, v13, v6, v97                                // 000000005768: D1CB0061 05860D0D
	v_fma_f32 v98, v14, v6, v98                                // 000000005770: D1CB0062 058A0D0E
	v_fma_f32 v99, v15, v6, v99                                // 000000005778: D1CB0063 058E0D0F
	v_mfma_f32_16x16x32_fp8_fp8 v[12:15], a[152:153], a[8:9], 0// 000000005780: D3F3000C 1A021198
	v_mfma_f32_16x16x32_fp8_fp8 v[12:15], a[154:155], a[10:11], v[12:15]// 000000005788: D3F3000C 1C32159A
	buffer_load_dwordx4 a[100:103], v54, s[24:27], 0 offen offset:1024// 000000005790: E05C1400 80866436
	v_mfma_f32_16x16x32_fp8_fp8 v[12:15], a[156:157], a[12:13], v[12:15]// 000000005798: D3F3000C 1C32199C
	v_mfma_f32_16x16x32_fp8_fp8 v[12:15], a[158:159], a[14:15], v[12:15]// 0000000057A0: D3F3000C 1C321D9E
	v_fma_f32 v108, v8, v4, v108                               // 0000000057A8: D1CB006C 05B20908
	v_fma_f32 v109, v9, v4, v109                               // 0000000057B0: D1CB006D 05B60909
	v_fma_f32 v110, v10, v4, v110                              // 0000000057B8: D1CB006E 05BA090A
	v_fma_f32 v111, v11, v4, v111                              // 0000000057C0: D1CB006F 05BE090B
	v_mul_f32_dpp v6, v26, v40 row_newbcast:3 row_mask:0xf bank_mask:0xf// 0000000057C8: 0A0C50FA FF01531A
	v_mfma_f32_16x16x32_fp8_fp8 v[8:11], a[160:161], a[8:9], 0 // 0000000057D0: D3F30008 1A0211A0
	v_mfma_f32_16x16x32_fp8_fp8 v[8:11], a[162:163], a[10:11], v[8:11]// 0000000057D8: D3F30008 1C2215A2
	buffer_load_dwordx4 a[104:107], v55, s[24:27], 0 offen     // 0000000057E0: E05C1000 80866837
	v_mfma_f32_16x16x32_fp8_fp8 v[8:11], a[164:165], a[12:13], v[8:11]// 0000000057E8: D3F30008 1C2219A4
	v_mfma_f32_16x16x32_fp8_fp8 v[8:11], a[166:167], a[14:15], v[8:11]// 0000000057F0: D3F30008 1C221DA6
	v_fma_f32 v120, v12, v4, v120                              // 0000000057F8: D1CB0078 05E2090C
	v_fma_f32 v121, v13, v4, v121                              // 000000005800: D1CB0079 05E6090D
	v_fma_f32 v122, v14, v4, v122                              // 000000005808: D1CB007A 05EA090E
	v_fma_f32 v123, v15, v4, v123                              // 000000005810: D1CB007B 05EE090F
	v_mfma_f32_16x16x32_fp8_fp8 v[12:15], a[168:169], a[8:9], 0// 000000005818: D3F3000C 1A0211A8
	v_mfma_f32_16x16x32_fp8_fp8 v[12:15], a[170:171], a[10:11], v[12:15]// 000000005820: D3F3000C 1C3215AA
	buffer_load_dwordx4 a[108:111], v55, s[24:27], 0 offen offset:1024// 000000005828: E05C1400 80866C37
	buffer_load_dword v42, s[20:23], 0 offen lds               // 000000005830: E0511000 8005002A
	s_add_u32 m0, 0x100, s49                                   // 000000005838: 807C31FF 00000100
	v_mfma_f32_16x16x32_fp8_fp8 v[12:15], a[172:173], a[12:13], v[12:15]// 000000005840: D3F3000C 1C3219AC
	v_mfma_f32_16x16x32_fp8_fp8 v[12:15], a[174:175], a[14:15], v[12:15]// 000000005848: D3F3000C 1C321DAE
	buffer_load_dword v43, s[20:23], 0 offen lds               // 000000005850: E0511000 8005002B
	s_add_u32 m0, 0x200, s49                                   // 000000005858: 807C31FF 00000200
	v_fma_f32 v132, v8, v6, v132                               // 000000005860: D1CB0084 06120D08
	v_fma_f32 v133, v9, v6, v133                               // 000000005868: D1CB0085 06160D09
	v_fma_f32 v134, v10, v6, v134                              // 000000005870: D1CB0086 061A0D0A
	v_fma_f32 v135, v11, v6, v135                              // 000000005878: D1CB0087 061E0D0B
	v_mul_f32_dpp v4, v26, v41 row_newbcast:0 row_mask:0xf bank_mask:0xf// 000000005880: 0A0852FA FF01501A
	v_mfma_f32_16x16x32_fp8_fp8 v[8:11], a[112:113], a[16:17], 0// 000000005888: D3F30008 1A022170
	v_mfma_f32_16x16x32_fp8_fp8 v[8:11], a[114:115], a[18:19], v[8:11]// 000000005890: D3F30008 1C222572
	buffer_load_dword v44, s[20:23], 0 offen lds               // 000000005898: E0511000 8005002C
	s_add_u32 m0, 0x300, s49                                   // 0000000058A0: 807C31FF 00000300
	v_mfma_f32_16x16x32_fp8_fp8 v[8:11], a[116:117], a[20:21], v[8:11]// 0000000058A8: D3F30008 1C222974
	v_mfma_f32_16x16x32_fp8_fp8 v[8:11], a[118:119], a[22:23], v[8:11]// 0000000058B0: D3F30008 1C222D76
	buffer_load_dword v45, s[20:23], 0 offen lds               // 0000000058B8: E0511000 8005002D
	s_add_u32 m0, 0x400, s49                                   // 0000000058C0: 807C31FF 00000400
	v_fma_f32 v144, v12, v6, v144                              // 0000000058C8: D1CB0090 06420D0C
	v_fma_f32 v145, v13, v6, v145                              // 0000000058D0: D1CB0091 06460D0D
	v_fma_f32 v146, v14, v6, v146                              // 0000000058D8: D1CB0092 064A0D0E
	v_fma_f32 v147, v15, v6, v147                              // 0000000058E0: D1CB0093 064E0D0F
	v_mfma_f32_16x16x32_fp8_fp8 v[12:15], a[120:121], a[16:17], 0// 0000000058E8: D3F3000C 1A022178
	v_mfma_f32_16x16x32_fp8_fp8 v[12:15], a[122:123], a[18:19], v[12:15]// 0000000058F0: D3F3000C 1C32257A
	buffer_load_dword v46, s[20:23], 0 offen lds               // 0000000058F8: E0511000 8005002E
	s_add_u32 m0, 0x500, s49                                   // 000000005900: 807C31FF 00000500
	v_mfma_f32_16x16x32_fp8_fp8 v[12:15], a[124:125], a[20:21], v[12:15]// 000000005908: D3F3000C 1C32297C
	v_mfma_f32_16x16x32_fp8_fp8 v[12:15], a[126:127], a[22:23], v[12:15]// 000000005910: D3F3000C 1C322D7E
	buffer_load_dword v47, s[20:23], 0 offen lds               // 000000005918: E0511000 8005002F
	s_add_u32 m0, 0, s50                                       // 000000005920: 807C3280
	v_fma_f32 v64, v8, v4, v64                                 // 000000005924: D1CB0040 05020908
	v_fma_f32 v65, v9, v4, v65                                 // 00000000592C: D1CB0041 05060909
	v_fma_f32 v66, v10, v4, v66                                // 000000005934: D1CB0042 050A090A
	v_fma_f32 v67, v11, v4, v67                                // 00000000593C: D1CB0043 050E090B
	v_mul_f32_dpp v6, v26, v41 row_newbcast:1 row_mask:0xf bank_mask:0xf// 000000005944: 0A0C52FA FF01511A
	v_mfma_f32_16x16x32_fp8_fp8 v[8:11], a[128:129], a[16:17], 0// 00000000594C: D3F30008 1A022180
	v_mfma_f32_16x16x32_fp8_fp8 v[8:11], a[130:131], a[18:19], v[8:11]// 000000005954: D3F30008 1C222582
	buffer_load_dword v36, v30, s[28:31], 0 offen              // 00000000595C: E0501000 8007241E
	v_mfma_f32_16x16x32_fp8_fp8 v[8:11], a[132:133], a[20:21], v[8:11]// 000000005964: D3F30008 1C222984
	v_mfma_f32_16x16x32_fp8_fp8 v[8:11], a[134:135], a[22:23], v[8:11]// 00000000596C: D3F30008 1C222D86
	buffer_load_dword v37, v31, s[28:31], 0 offen              // 000000005974: E0501000 8007251F
	v_fma_f32 v76, v12, v4, v76                                // 00000000597C: D1CB004C 0532090C
	v_fma_f32 v77, v13, v4, v77                                // 000000005984: D1CB004D 0536090D
	v_fma_f32 v78, v14, v4, v78                                // 00000000598C: D1CB004E 053A090E
	v_fma_f32 v79, v15, v4, v79                                // 000000005994: D1CB004F 053E090F
	v_mfma_f32_16x16x32_fp8_fp8 v[12:15], a[136:137], a[16:17], 0// 00000000599C: D3F3000C 1A022188
	v_mfma_f32_16x16x32_fp8_fp8 v[12:15], a[138:139], a[18:19], v[12:15]// 0000000059A4: D3F3000C 1C32258A
	buffer_load_dword v38, v32, s[28:31], 0 offen              // 0000000059AC: E0501000 80072620
	v_mfma_f32_16x16x32_fp8_fp8 v[12:15], a[140:141], a[20:21], v[12:15]// 0000000059B4: D3F3000C 1C32298C
	v_mfma_f32_16x16x32_fp8_fp8 v[12:15], a[142:143], a[22:23], v[12:15]// 0000000059BC: D3F3000C 1C322D8E
	v_fma_f32 v88, v8, v6, v88                                 // 0000000059C4: D1CB0058 05620D08
	v_fma_f32 v89, v9, v6, v89                                 // 0000000059CC: D1CB0059 05660D09
	v_fma_f32 v90, v10, v6, v90                                // 0000000059D4: D1CB005A 056A0D0A
	v_fma_f32 v91, v11, v6, v91                                // 0000000059DC: D1CB005B 056E0D0B
	v_mul_f32_dpp v4, v26, v41 row_newbcast:2 row_mask:0xf bank_mask:0xf// 0000000059E4: 0A0852FA FF01521A
	v_mfma_f32_16x16x32_fp8_fp8 v[8:11], a[144:145], a[16:17], 0// 0000000059EC: D3F30008 1A022190
	v_mfma_f32_16x16x32_fp8_fp8 v[8:11], a[146:147], a[18:19], v[8:11]// 0000000059F4: D3F30008 1C222592
	v_mfma_f32_16x16x32_fp8_fp8 v[8:11], a[148:149], a[20:21], v[8:11]// 0000000059FC: D3F30008 1C222994
	v_mfma_f32_16x16x32_fp8_fp8 v[8:11], a[150:151], a[22:23], v[8:11]// 000000005A04: D3F30008 1C222D96
	v_fma_f32 v100, v12, v6, v100                              // 000000005A0C: D1CB0064 05920D0C
	v_fma_f32 v101, v13, v6, v101                              // 000000005A14: D1CB0065 05960D0D
	v_fma_f32 v102, v14, v6, v102                              // 000000005A1C: D1CB0066 059A0D0E
	v_fma_f32 v103, v15, v6, v103                              // 000000005A24: D1CB0067 059E0D0F
	v_mfma_f32_16x16x32_fp8_fp8 v[12:15], a[152:153], a[16:17], 0// 000000005A2C: D3F3000C 1A022198
	v_mfma_f32_16x16x32_fp8_fp8 v[12:15], a[154:155], a[18:19], v[12:15]// 000000005A34: D3F3000C 1C32259A
	v_mfma_f32_16x16x32_fp8_fp8 v[12:15], a[156:157], a[20:21], v[12:15]// 000000005A3C: D3F3000C 1C32299C
	v_mfma_f32_16x16x32_fp8_fp8 v[12:15], a[158:159], a[22:23], v[12:15]// 000000005A44: D3F3000C 1C322D9E
	v_fma_f32 v112, v8, v4, v112                               // 000000005A4C: D1CB0070 05C20908
	v_fma_f32 v113, v9, v4, v113                               // 000000005A54: D1CB0071 05C60909
	v_fma_f32 v114, v10, v4, v114                              // 000000005A5C: D1CB0072 05CA090A
	v_fma_f32 v115, v11, v4, v115                              // 000000005A64: D1CB0073 05CE090B
	v_mul_f32_dpp v6, v26, v41 row_newbcast:3 row_mask:0xf bank_mask:0xf// 000000005A6C: 0A0C52FA FF01531A
	v_mfma_f32_16x16x32_fp8_fp8 v[8:11], a[160:161], a[16:17], 0// 000000005A74: D3F30008 1A0221A0
	v_mfma_f32_16x16x32_fp8_fp8 v[8:11], a[162:163], a[18:19], v[8:11]// 000000005A7C: D3F30008 1C2225A2
	v_mfma_f32_16x16x32_fp8_fp8 v[8:11], a[164:165], a[20:21], v[8:11]// 000000005A84: D3F30008 1C2229A4
	v_mfma_f32_16x16x32_fp8_fp8 v[8:11], a[166:167], a[22:23], v[8:11]// 000000005A8C: D3F30008 1C222DA6
	v_fma_f32 v124, v12, v4, v124                              // 000000005A94: D1CB007C 05F2090C
	v_fma_f32 v125, v13, v4, v125                              // 000000005A9C: D1CB007D 05F6090D
	v_fma_f32 v126, v14, v4, v126                              // 000000005AA4: D1CB007E 05FA090E
	v_fma_f32 v127, v15, v4, v127                              // 000000005AAC: D1CB007F 05FE090F
	v_mfma_f32_16x16x32_fp8_fp8 v[12:15], a[168:169], a[16:17], 0// 000000005AB4: D3F3000C 1A0221A8
	v_mfma_f32_16x16x32_fp8_fp8 v[12:15], a[170:171], a[18:19], v[12:15]// 000000005ABC: D3F3000C 1C3225AA
	v_mfma_f32_16x16x32_fp8_fp8 v[12:15], a[172:173], a[20:21], v[12:15]// 000000005AC4: D3F3000C 1C3229AC
	v_mfma_f32_16x16x32_fp8_fp8 v[12:15], a[174:175], a[22:23], v[12:15]// 000000005ACC: D3F3000C 1C322DAE
	v_fma_f32 v136, v8, v6, v136                               // 000000005AD4: D1CB0088 06220D08
	v_fma_f32 v137, v9, v6, v137                               // 000000005ADC: D1CB0089 06260D09
	v_fma_f32 v138, v10, v6, v138                              // 000000005AE4: D1CB008A 062A0D0A
	v_fma_f32 v139, v11, v6, v139                              // 000000005AEC: D1CB008B 062E0D0B
	v_fma_f32 v148, v12, v6, v148                              // 000000005AF4: D1CB0094 06520D0C
	v_fma_f32 v149, v13, v6, v149                              // 000000005AFC: D1CB0095 06560D0D
	v_fma_f32 v150, v14, v6, v150                              // 000000005B04: D1CB0096 065A0D0E
	v_fma_f32 v151, v15, v6, v151                              // 000000005B0C: D1CB0097 065E0D0F
	s_waitcnt vmcnt(26)                                        // 000000005B14: BF8C4F7A
	s_barrier                                                  // 000000005B18: BF8A0000
	v_mul_f32_dpp v4, v29, v39 row_newbcast:0 row_mask:0xf bank_mask:0xf// 000000005B1C: 0A084EFA FF01501D
	v_mfma_f32_16x16x32_fp8_fp8 v[8:11], a[176:177], a[0:1], 0 // 000000005B24: D3F30008 1A0201B0
	buffer_load_dword v27, v23, s[32:35], 0 offen              // 000000005B2C: E0501000 80081B17
	v_mfma_f32_16x16x32_fp8_fp8 v[8:11], a[178:179], a[2:3], v[8:11]// 000000005B34: D3F30008 1C2205B2
	buffer_load_dwordx4 a[112:115], v48, s[84:87], 0 offen     // 000000005B3C: E05C1000 80957030
	v_mfma_f32_16x16x32_fp8_fp8 v[8:11], a[180:181], a[4:5], v[8:11]// 000000005B44: D3F30008 1C2209B4
	v_mfma_f32_16x16x32_fp8_fp8 v[8:11], a[182:183], a[6:7], v[8:11]// 000000005B4C: D3F30008 1C220DB6
	ds_read_b128 a[24:27], v2                                  // 000000005B54: DBFE0000 18000002
	ds_read_b128 a[28:31], v2 offset:64                        // 000000005B5C: DBFE0040 1C000002
	v_mfma_f32_16x16x32_fp8_fp8 v[12:15], a[184:185], a[0:1], 0// 000000005B64: D3F3000C 1A0201B8
	v_mfma_f32_16x16x32_fp8_fp8 v[12:15], a[186:187], a[2:3], v[12:15]// 000000005B6C: D3F3000C 1C3205BA
	buffer_load_dwordx4 a[116:119], v48, s[84:87], 0 offen offset:1024// 000000005B74: E05C1400 80957430
	v_mfma_f32_16x16x32_fp8_fp8 v[12:15], a[188:189], a[4:5], v[12:15]// 000000005B7C: D3F3000C 1C3209BC
	v_mfma_f32_16x16x32_fp8_fp8 v[12:15], a[190:191], a[6:7], v[12:15]// 000000005B84: D3F3000C 1C320DBE
	ds_read_b128 a[32:35], v2 offset:512                       // 000000005B8C: DBFE0200 20000002
	ds_read_b128 a[36:39], v2 offset:576                       // 000000005B94: DBFE0240 24000002
	v_fma_f32 v152, v8, v4, v152                               // 000000005B9C: D1CB0098 06620908
	v_fma_f32 v153, v9, v4, v153                               // 000000005BA4: D1CB0099 06660909
	v_fma_f32 v154, v10, v4, v154                              // 000000005BAC: D1CB009A 066A090A
	v_fma_f32 v155, v11, v4, v155                              // 000000005BB4: D1CB009B 066E090B
	v_mul_f32_dpp v6, v29, v39 row_newbcast:1 row_mask:0xf bank_mask:0xf// 000000005BBC: 0A0C4EFA FF01511D
	v_mfma_f32_16x16x32_fp8_fp8 v[8:11], a[192:193], a[0:1], 0 // 000000005BC4: D3F30008 1A0201C0
	v_mfma_f32_16x16x32_fp8_fp8 v[8:11], a[194:195], a[2:3], v[8:11]// 000000005BCC: D3F30008 1C2205C2
	buffer_load_dwordx4 a[120:123], v49, s[84:87], 0 offen     // 000000005BD4: E05C1000 80957831
	v_mfma_f32_16x16x32_fp8_fp8 v[8:11], a[196:197], a[4:5], v[8:11]// 000000005BDC: D3F30008 1C2209C4
	v_mfma_f32_16x16x32_fp8_fp8 v[8:11], a[198:199], a[6:7], v[8:11]// 000000005BE4: D3F30008 1C220DC6
	ds_read_b128 a[40:43], v2 offset:1024                      // 000000005BEC: DBFE0400 28000002
	ds_read_b128 a[44:47], v2 offset:1088                      // 000000005BF4: DBFE0440 2C000002
	v_fma_f32 v164, v12, v4, v164                              // 000000005BFC: D1CB00A4 0692090C
	v_fma_f32 v165, v13, v4, v165                              // 000000005C04: D1CB00A5 0696090D
	v_fma_f32 v166, v14, v4, v166                              // 000000005C0C: D1CB00A6 069A090E
	v_fma_f32 v167, v15, v4, v167                              // 000000005C14: D1CB00A7 069E090F
	v_mfma_f32_16x16x32_fp8_fp8 v[12:15], a[200:201], a[0:1], 0// 000000005C1C: D3F3000C 1A0201C8
	v_mfma_f32_16x16x32_fp8_fp8 v[12:15], a[202:203], a[2:3], v[12:15]// 000000005C24: D3F3000C 1C3205CA
	buffer_load_dwordx4 a[124:127], v49, s[84:87], 0 offen offset:1024// 000000005C2C: E05C1400 80957C31
	v_mfma_f32_16x16x32_fp8_fp8 v[12:15], a[204:205], a[4:5], v[12:15]// 000000005C34: D3F3000C 1C3209CC
	v_mfma_f32_16x16x32_fp8_fp8 v[12:15], a[206:207], a[6:7], v[12:15]// 000000005C3C: D3F3000C 1C320DCE
	v_fma_f32 v176, v8, v6, v176                               // 000000005C44: D1CB00B0 06C20D08
	v_fma_f32 v177, v9, v6, v177                               // 000000005C4C: D1CB00B1 06C60D09
	v_fma_f32 v178, v10, v6, v178                              // 000000005C54: D1CB00B2 06CA0D0A
	v_fma_f32 v179, v11, v6, v179                              // 000000005C5C: D1CB00B3 06CE0D0B
	v_mul_f32_dpp v4, v29, v39 row_newbcast:2 row_mask:0xf bank_mask:0xf// 000000005C64: 0A084EFA FF01521D
	v_mfma_f32_16x16x32_fp8_fp8 v[8:11], a[208:209], a[0:1], 0 // 000000005C6C: D3F30008 1A0201D0
	v_mfma_f32_16x16x32_fp8_fp8 v[8:11], a[210:211], a[2:3], v[8:11]// 000000005C74: D3F30008 1C2205D2
	buffer_load_dwordx4 a[128:131], v50, s[84:87], 0 offen     // 000000005C7C: E05C1000 80958032
	v_mfma_f32_16x16x32_fp8_fp8 v[8:11], a[212:213], a[4:5], v[8:11]// 000000005C84: D3F30008 1C2209D4
	v_mfma_f32_16x16x32_fp8_fp8 v[8:11], a[214:215], a[6:7], v[8:11]// 000000005C8C: D3F30008 1C220DD6
	v_fma_f32 v188, v12, v6, v188                              // 000000005C94: D1CB00BC 06F20D0C
	v_fma_f32 v189, v13, v6, v189                              // 000000005C9C: D1CB00BD 06F60D0D
	v_fma_f32 v190, v14, v6, v190                              // 000000005CA4: D1CB00BE 06FA0D0E
	v_fma_f32 v191, v15, v6, v191                              // 000000005CAC: D1CB00BF 06FE0D0F
	v_mfma_f32_16x16x32_fp8_fp8 v[12:15], a[216:217], a[0:1], 0// 000000005CB4: D3F3000C 1A0201D8
	v_mfma_f32_16x16x32_fp8_fp8 v[12:15], a[218:219], a[2:3], v[12:15]// 000000005CBC: D3F3000C 1C3205DA
	buffer_load_dwordx4 a[132:135], v50, s[84:87], 0 offen offset:1024// 000000005CC4: E05C1400 80958432
	v_mfma_f32_16x16x32_fp8_fp8 v[12:15], a[220:221], a[4:5], v[12:15]// 000000005CCC: D3F3000C 1C3209DC
	v_mfma_f32_16x16x32_fp8_fp8 v[12:15], a[222:223], a[6:7], v[12:15]// 000000005CD4: D3F3000C 1C320DDE
	v_fma_f32 v200, v8, v4, v200                               // 000000005CDC: D1CB00C8 07220908
	v_fma_f32 v201, v9, v4, v201                               // 000000005CE4: D1CB00C9 07260909
	v_fma_f32 v202, v10, v4, v202                              // 000000005CEC: D1CB00CA 072A090A
	v_fma_f32 v203, v11, v4, v203                              // 000000005CF4: D1CB00CB 072E090B
	v_mul_f32_dpp v6, v29, v39 row_newbcast:3 row_mask:0xf bank_mask:0xf// 000000005CFC: 0A0C4EFA FF01531D
	v_mfma_f32_16x16x32_fp8_fp8 v[8:11], a[224:225], a[0:1], 0 // 000000005D04: D3F30008 1A0201E0
	v_mfma_f32_16x16x32_fp8_fp8 v[8:11], a[226:227], a[2:3], v[8:11]// 000000005D0C: D3F30008 1C2205E2
	buffer_load_dwordx4 a[136:139], v51, s[84:87], 0 offen     // 000000005D14: E05C1000 80958833
	v_mfma_f32_16x16x32_fp8_fp8 v[8:11], a[228:229], a[4:5], v[8:11]// 000000005D1C: D3F30008 1C2209E4
	v_mfma_f32_16x16x32_fp8_fp8 v[8:11], a[230:231], a[6:7], v[8:11]// 000000005D24: D3F30008 1C220DE6
	v_fma_f32 v212, v12, v4, v212                              // 000000005D2C: D1CB00D4 0752090C
	v_fma_f32 v213, v13, v4, v213                              // 000000005D34: D1CB00D5 0756090D
	v_fma_f32 v214, v14, v4, v214                              // 000000005D3C: D1CB00D6 075A090E
	v_fma_f32 v215, v15, v4, v215                              // 000000005D44: D1CB00D7 075E090F
	v_mfma_f32_16x16x32_fp8_fp8 v[12:15], a[232:233], a[0:1], 0// 000000005D4C: D3F3000C 1A0201E8
	v_mfma_f32_16x16x32_fp8_fp8 v[12:15], a[234:235], a[2:3], v[12:15]// 000000005D54: D3F3000C 1C3205EA
	buffer_load_dwordx4 a[140:143], v51, s[84:87], 0 offen offset:1024// 000000005D5C: E05C1400 80958C33
	v_mfma_f32_16x16x32_fp8_fp8 v[12:15], a[236:237], a[4:5], v[12:15]// 000000005D64: D3F3000C 1C3209EC
	v_mfma_f32_16x16x32_fp8_fp8 v[12:15], a[238:239], a[6:7], v[12:15]// 000000005D6C: D3F3000C 1C320DEE
	v_fma_f32 v224, v8, v6, v224                               // 000000005D74: D1CB00E0 07820D08
	v_fma_f32 v225, v9, v6, v225                               // 000000005D7C: D1CB00E1 07860D09
	v_fma_f32 v226, v10, v6, v226                              // 000000005D84: D1CB00E2 078A0D0A
	v_fma_f32 v227, v11, v6, v227                              // 000000005D8C: D1CB00E3 078E0D0B
	v_mul_f32_dpp v4, v29, v40 row_newbcast:0 row_mask:0xf bank_mask:0xf// 000000005D94: 0A0850FA FF01501D
	v_mfma_f32_16x16x32_fp8_fp8 v[8:11], a[176:177], a[8:9], 0 // 000000005D9C: D3F30008 1A0211B0
	v_mfma_f32_16x16x32_fp8_fp8 v[8:11], a[178:179], a[10:11], v[8:11]// 000000005DA4: D3F30008 1C2215B2
	buffer_load_dwordx4 a[144:147], v52, s[84:87], 0 offen     // 000000005DAC: E05C1000 80959034
	v_mfma_f32_16x16x32_fp8_fp8 v[8:11], a[180:181], a[12:13], v[8:11]// 000000005DB4: D3F30008 1C2219B4
	v_mfma_f32_16x16x32_fp8_fp8 v[8:11], a[182:183], a[14:15], v[8:11]// 000000005DBC: D3F30008 1C221DB6
	v_fma_f32 v236, v12, v6, v236                              // 000000005DC4: D1CB00EC 07B20D0C
	v_fma_f32 v237, v13, v6, v237                              // 000000005DCC: D1CB00ED 07B60D0D
	v_fma_f32 v238, v14, v6, v238                              // 000000005DD4: D1CB00EE 07BA0D0E
	v_fma_f32 v239, v15, v6, v239                              // 000000005DDC: D1CB00EF 07BE0D0F
	v_mfma_f32_16x16x32_fp8_fp8 v[12:15], a[184:185], a[8:9], 0// 000000005DE4: D3F3000C 1A0211B8
	v_mfma_f32_16x16x32_fp8_fp8 v[12:15], a[186:187], a[10:11], v[12:15]// 000000005DEC: D3F3000C 1C3215BA
	buffer_load_dwordx4 a[148:151], v52, s[84:87], 0 offen offset:1024// 000000005DF4: E05C1400 80959434
	v_mfma_f32_16x16x32_fp8_fp8 v[12:15], a[188:189], a[12:13], v[12:15]// 000000005DFC: D3F3000C 1C3219BC
	v_mfma_f32_16x16x32_fp8_fp8 v[12:15], a[190:191], a[14:15], v[12:15]// 000000005E04: D3F3000C 1C321DBE
	v_fma_f32 v156, v8, v4, v156                               // 000000005E0C: D1CB009C 06720908
	v_fma_f32 v157, v9, v4, v157                               // 000000005E14: D1CB009D 06760909
	v_fma_f32 v158, v10, v4, v158                              // 000000005E1C: D1CB009E 067A090A
	v_fma_f32 v159, v11, v4, v159                              // 000000005E24: D1CB009F 067E090B
	v_mul_f32_dpp v6, v29, v40 row_newbcast:1 row_mask:0xf bank_mask:0xf// 000000005E2C: 0A0C50FA FF01511D
	v_mfma_f32_16x16x32_fp8_fp8 v[8:11], a[192:193], a[8:9], 0 // 000000005E34: D3F30008 1A0211C0
	v_mfma_f32_16x16x32_fp8_fp8 v[8:11], a[194:195], a[10:11], v[8:11]// 000000005E3C: D3F30008 1C2215C2
	buffer_load_dwordx4 a[152:155], v53, s[84:87], 0 offen     // 000000005E44: E05C1000 80959835
	v_mfma_f32_16x16x32_fp8_fp8 v[8:11], a[196:197], a[12:13], v[8:11]// 000000005E4C: D3F30008 1C2219C4
	v_mfma_f32_16x16x32_fp8_fp8 v[8:11], a[198:199], a[14:15], v[8:11]// 000000005E54: D3F30008 1C221DC6
	v_fma_f32 v168, v12, v4, v168                              // 000000005E5C: D1CB00A8 06A2090C
	v_fma_f32 v169, v13, v4, v169                              // 000000005E64: D1CB00A9 06A6090D
	v_fma_f32 v170, v14, v4, v170                              // 000000005E6C: D1CB00AA 06AA090E
	v_fma_f32 v171, v15, v4, v171                              // 000000005E74: D1CB00AB 06AE090F
	v_mfma_f32_16x16x32_fp8_fp8 v[12:15], a[200:201], a[8:9], 0// 000000005E7C: D3F3000C 1A0211C8
	v_mfma_f32_16x16x32_fp8_fp8 v[12:15], a[202:203], a[10:11], v[12:15]// 000000005E84: D3F3000C 1C3215CA
	buffer_load_dwordx4 a[156:159], v53, s[84:87], 0 offen offset:1024// 000000005E8C: E05C1400 80959C35
	v_mfma_f32_16x16x32_fp8_fp8 v[12:15], a[204:205], a[12:13], v[12:15]// 000000005E94: D3F3000C 1C3219CC
	v_mfma_f32_16x16x32_fp8_fp8 v[12:15], a[206:207], a[14:15], v[12:15]// 000000005E9C: D3F3000C 1C321DCE
	v_fma_f32 v180, v8, v6, v180                               // 000000005EA4: D1CB00B4 06D20D08
	v_fma_f32 v181, v9, v6, v181                               // 000000005EAC: D1CB00B5 06D60D09
	v_fma_f32 v182, v10, v6, v182                              // 000000005EB4: D1CB00B6 06DA0D0A
	v_fma_f32 v183, v11, v6, v183                              // 000000005EBC: D1CB00B7 06DE0D0B
	v_mul_f32_dpp v4, v29, v40 row_newbcast:2 row_mask:0xf bank_mask:0xf// 000000005EC4: 0A0850FA FF01521D
	v_mfma_f32_16x16x32_fp8_fp8 v[8:11], a[208:209], a[8:9], 0 // 000000005ECC: D3F30008 1A0211D0
	v_mfma_f32_16x16x32_fp8_fp8 v[8:11], a[210:211], a[10:11], v[8:11]// 000000005ED4: D3F30008 1C2215D2
	buffer_load_dwordx4 a[160:163], v54, s[84:87], 0 offen     // 000000005EDC: E05C1000 8095A036
	v_mfma_f32_16x16x32_fp8_fp8 v[8:11], a[212:213], a[12:13], v[8:11]// 000000005EE4: D3F30008 1C2219D4
	v_mfma_f32_16x16x32_fp8_fp8 v[8:11], a[214:215], a[14:15], v[8:11]// 000000005EEC: D3F30008 1C221DD6
	v_fma_f32 v192, v12, v6, v192                              // 000000005EF4: D1CB00C0 07020D0C
	v_fma_f32 v193, v13, v6, v193                              // 000000005EFC: D1CB00C1 07060D0D
	v_fma_f32 v194, v14, v6, v194                              // 000000005F04: D1CB00C2 070A0D0E
	v_fma_f32 v195, v15, v6, v195                              // 000000005F0C: D1CB00C3 070E0D0F
	v_mfma_f32_16x16x32_fp8_fp8 v[12:15], a[216:217], a[8:9], 0// 000000005F14: D3F3000C 1A0211D8
	v_mfma_f32_16x16x32_fp8_fp8 v[12:15], a[218:219], a[10:11], v[12:15]// 000000005F1C: D3F3000C 1C3215DA
	buffer_load_dwordx4 a[164:167], v54, s[84:87], 0 offen offset:1024// 000000005F24: E05C1400 8095A436
	v_mfma_f32_16x16x32_fp8_fp8 v[12:15], a[220:221], a[12:13], v[12:15]// 000000005F2C: D3F3000C 1C3219DC
	v_mfma_f32_16x16x32_fp8_fp8 v[12:15], a[222:223], a[14:15], v[12:15]// 000000005F34: D3F3000C 1C321DDE
	v_fma_f32 v204, v8, v4, v204                               // 000000005F3C: D1CB00CC 07320908
	v_fma_f32 v205, v9, v4, v205                               // 000000005F44: D1CB00CD 07360909
	v_fma_f32 v206, v10, v4, v206                              // 000000005F4C: D1CB00CE 073A090A
	v_fma_f32 v207, v11, v4, v207                              // 000000005F54: D1CB00CF 073E090B
	v_mul_f32_dpp v6, v29, v40 row_newbcast:3 row_mask:0xf bank_mask:0xf// 000000005F5C: 0A0C50FA FF01531D
	v_mfma_f32_16x16x32_fp8_fp8 v[8:11], a[224:225], a[8:9], 0 // 000000005F64: D3F30008 1A0211E0
	v_mfma_f32_16x16x32_fp8_fp8 v[8:11], a[226:227], a[10:11], v[8:11]// 000000005F6C: D3F30008 1C2215E2
	buffer_load_dwordx4 a[168:171], v55, s[84:87], 0 offen     // 000000005F74: E05C1000 8095A837
	v_mfma_f32_16x16x32_fp8_fp8 v[8:11], a[228:229], a[12:13], v[8:11]// 000000005F7C: D3F30008 1C2219E4
	v_mfma_f32_16x16x32_fp8_fp8 v[8:11], a[230:231], a[14:15], v[8:11]// 000000005F84: D3F30008 1C221DE6
	v_fma_f32 v216, v12, v4, v216                              // 000000005F8C: D1CB00D8 0762090C
	v_fma_f32 v217, v13, v4, v217                              // 000000005F94: D1CB00D9 0766090D
	v_fma_f32 v218, v14, v4, v218                              // 000000005F9C: D1CB00DA 076A090E
	v_fma_f32 v219, v15, v4, v219                              // 000000005FA4: D1CB00DB 076E090F
	v_mfma_f32_16x16x32_fp8_fp8 v[12:15], a[232:233], a[8:9], 0// 000000005FAC: D3F3000C 1A0211E8
	v_mfma_f32_16x16x32_fp8_fp8 v[12:15], a[234:235], a[10:11], v[12:15]// 000000005FB4: D3F3000C 1C3215EA
	buffer_load_dwordx4 a[172:175], v55, s[84:87], 0 offen offset:1024// 000000005FBC: E05C1400 8095AC37
	v_mfma_f32_16x16x32_fp8_fp8 v[12:15], a[236:237], a[12:13], v[12:15]// 000000005FC4: D3F3000C 1C3219EC
	v_mfma_f32_16x16x32_fp8_fp8 v[12:15], a[238:239], a[14:15], v[12:15]// 000000005FCC: D3F3000C 1C321DEE
	v_fma_f32 v228, v8, v6, v228                               // 000000005FD4: D1CB00E4 07920D08
	v_fma_f32 v229, v9, v6, v229                               // 000000005FDC: D1CB00E5 07960D09
	v_fma_f32 v230, v10, v6, v230                              // 000000005FE4: D1CB00E6 079A0D0A
	v_fma_f32 v231, v11, v6, v231                              // 000000005FEC: D1CB00E7 079E0D0B
	v_mul_f32_dpp v4, v29, v41 row_newbcast:0 row_mask:0xf bank_mask:0xf// 000000005FF4: 0A0852FA FF01501D
	v_mfma_f32_16x16x32_fp8_fp8 v[8:11], a[176:177], a[16:17], 0// 000000005FFC: D3F30008 1A0221B0
	v_mfma_f32_16x16x32_fp8_fp8 v[8:11], a[178:179], a[18:19], v[8:11]// 000000006004: D3F30008 1C2225B2
	v_mfma_f32_16x16x32_fp8_fp8 v[8:11], a[180:181], a[20:21], v[8:11]// 00000000600C: D3F30008 1C2229B4
	v_mfma_f32_16x16x32_fp8_fp8 v[8:11], a[182:183], a[22:23], v[8:11]// 000000006014: D3F30008 1C222DB6
	v_fma_f32 v240, v12, v6, v240                              // 00000000601C: D1CB00F0 07C20D0C
	v_fma_f32 v241, v13, v6, v241                              // 000000006024: D1CB00F1 07C60D0D
	v_fma_f32 v242, v14, v6, v242                              // 00000000602C: D1CB00F2 07CA0D0E
	v_fma_f32 v243, v15, v6, v243                              // 000000006034: D1CB00F3 07CE0D0F
	v_mfma_f32_16x16x32_fp8_fp8 v[12:15], a[184:185], a[16:17], 0// 00000000603C: D3F3000C 1A0221B8
	v_mfma_f32_16x16x32_fp8_fp8 v[12:15], a[186:187], a[18:19], v[12:15]// 000000006044: D3F3000C 1C3225BA
	v_mfma_f32_16x16x32_fp8_fp8 v[12:15], a[188:189], a[20:21], v[12:15]// 00000000604C: D3F3000C 1C3229BC
	v_mfma_f32_16x16x32_fp8_fp8 v[12:15], a[190:191], a[22:23], v[12:15]// 000000006054: D3F3000C 1C322DBE
	v_fma_f32 v160, v8, v4, v160                               // 00000000605C: D1CB00A0 06820908
	v_fma_f32 v161, v9, v4, v161                               // 000000006064: D1CB00A1 06860909
	v_fma_f32 v162, v10, v4, v162                              // 00000000606C: D1CB00A2 068A090A
	v_fma_f32 v163, v11, v4, v163                              // 000000006074: D1CB00A3 068E090B
	v_mul_f32_dpp v6, v29, v41 row_newbcast:1 row_mask:0xf bank_mask:0xf// 00000000607C: 0A0C52FA FF01511D
	v_mfma_f32_16x16x32_fp8_fp8 v[8:11], a[192:193], a[16:17], 0// 000000006084: D3F30008 1A0221C0
	v_mfma_f32_16x16x32_fp8_fp8 v[8:11], a[194:195], a[18:19], v[8:11]// 00000000608C: D3F30008 1C2225C2
	v_mfma_f32_16x16x32_fp8_fp8 v[8:11], a[196:197], a[20:21], v[8:11]// 000000006094: D3F30008 1C2229C4
	v_mfma_f32_16x16x32_fp8_fp8 v[8:11], a[198:199], a[22:23], v[8:11]// 00000000609C: D3F30008 1C222DC6
	v_fma_f32 v172, v12, v4, v172                              // 0000000060A4: D1CB00AC 06B2090C
	v_fma_f32 v173, v13, v4, v173                              // 0000000060AC: D1CB00AD 06B6090D
	v_fma_f32 v174, v14, v4, v174                              // 0000000060B4: D1CB00AE 06BA090E
	v_fma_f32 v175, v15, v4, v175                              // 0000000060BC: D1CB00AF 06BE090F
	v_mfma_f32_16x16x32_fp8_fp8 v[12:15], a[200:201], a[16:17], 0// 0000000060C4: D3F3000C 1A0221C8
	v_mfma_f32_16x16x32_fp8_fp8 v[12:15], a[202:203], a[18:19], v[12:15]// 0000000060CC: D3F3000C 1C3225CA
	v_mfma_f32_16x16x32_fp8_fp8 v[12:15], a[204:205], a[20:21], v[12:15]// 0000000060D4: D3F3000C 1C3229CC
	v_mfma_f32_16x16x32_fp8_fp8 v[12:15], a[206:207], a[22:23], v[12:15]// 0000000060DC: D3F3000C 1C322DCE
	v_fma_f32 v184, v8, v6, v184                               // 0000000060E4: D1CB00B8 06E20D08
	v_fma_f32 v185, v9, v6, v185                               // 0000000060EC: D1CB00B9 06E60D09
	v_fma_f32 v186, v10, v6, v186                              // 0000000060F4: D1CB00BA 06EA0D0A
	v_fma_f32 v187, v11, v6, v187                              // 0000000060FC: D1CB00BB 06EE0D0B
	v_mul_f32_dpp v4, v29, v41 row_newbcast:2 row_mask:0xf bank_mask:0xf// 000000006104: 0A0852FA FF01521D
	v_mfma_f32_16x16x32_fp8_fp8 v[8:11], a[208:209], a[16:17], 0// 00000000610C: D3F30008 1A0221D0
	v_mfma_f32_16x16x32_fp8_fp8 v[8:11], a[210:211], a[18:19], v[8:11]// 000000006114: D3F30008 1C2225D2
	v_mfma_f32_16x16x32_fp8_fp8 v[8:11], a[212:213], a[20:21], v[8:11]// 00000000611C: D3F30008 1C2229D4
	v_mfma_f32_16x16x32_fp8_fp8 v[8:11], a[214:215], a[22:23], v[8:11]// 000000006124: D3F30008 1C222DD6
	v_fma_f32 v196, v12, v6, v196                              // 00000000612C: D1CB00C4 07120D0C
	v_fma_f32 v197, v13, v6, v197                              // 000000006134: D1CB00C5 07160D0D
	v_fma_f32 v198, v14, v6, v198                              // 00000000613C: D1CB00C6 071A0D0E
	v_fma_f32 v199, v15, v6, v199                              // 000000006144: D1CB00C7 071E0D0F
	v_mfma_f32_16x16x32_fp8_fp8 v[12:15], a[216:217], a[16:17], 0// 00000000614C: D3F3000C 1A0221D8
	v_mfma_f32_16x16x32_fp8_fp8 v[12:15], a[218:219], a[18:19], v[12:15]// 000000006154: D3F3000C 1C3225DA
	v_mfma_f32_16x16x32_fp8_fp8 v[12:15], a[220:221], a[20:21], v[12:15]// 00000000615C: D3F3000C 1C3229DC
	v_mfma_f32_16x16x32_fp8_fp8 v[12:15], a[222:223], a[22:23], v[12:15]// 000000006164: D3F3000C 1C322DDE
	v_fma_f32 v208, v8, v4, v208                               // 00000000616C: D1CB00D0 07420908
	v_fma_f32 v209, v9, v4, v209                               // 000000006174: D1CB00D1 07460909
	v_fma_f32 v210, v10, v4, v210                              // 00000000617C: D1CB00D2 074A090A
	v_fma_f32 v211, v11, v4, v211                              // 000000006184: D1CB00D3 074E090B
	v_mul_f32_dpp v6, v29, v41 row_newbcast:3 row_mask:0xf bank_mask:0xf// 00000000618C: 0A0C52FA FF01531D
	v_mfma_f32_16x16x32_fp8_fp8 v[8:11], a[224:225], a[16:17], 0// 000000006194: D3F30008 1A0221E0
	s_add_u32 s60, 0x180, s80                                  // 00000000619C: 803C50FF 00000180
	s_cmp_lt_u32 s60, s81                                      // 0000000061A4: BF0A513C
	s_cselect_b32 s57, s57, 0                                  // 0000000061A8: 85398039
	s_cselect_b32 s3, s3, 0                                    // 0000000061AC: 85038003
	v_mfma_f32_16x16x32_fp8_fp8 v[8:11], a[226:227], a[18:19], v[8:11]// 0000000061B0: D3F30008 1C2225E2
	s_add_u32 s60, 0x100, s80                                  // 0000000061B8: 803C50FF 00000100
	s_cmp_lt_u32 s60, s81                                      // 0000000061C0: BF0A513C
	s_cselect_b32 s58, s58, 0                                  // 0000000061C4: 853A803A
	v_mfma_f32_16x16x32_fp8_fp8 v[8:11], a[228:229], a[20:21], v[8:11]// 0000000061C8: D3F30008 1C2229E4
	s_add_u32 s60, 0x100, s80                                  // 0000000061D0: 803C50FF 00000100
	s_cmp_lt_u32 s60, s81                                      // 0000000061D8: BF0A513C
	s_cselect_b32 s83, s83, 0                                  // 0000000061DC: 85538053
	s_cselect_b32 s4, s4, 0                                    // 0000000061E0: 85048004
	v_mfma_f32_16x16x32_fp8_fp8 v[8:11], a[230:231], a[22:23], v[8:11]// 0000000061E4: D3F30008 1C222DE6
	s_add_u32 s24, s58, s24                                    // 0000000061EC: 8018183A
	s_addc_u32 s25, 0, s25                                     // 0000000061F0: 82191980
	v_fma_f32 v220, v12, v4, v220                              // 0000000061F4: D1CB00DC 0772090C
	v_fma_f32 v221, v13, v4, v221                              // 0000000061FC: D1CB00DD 0776090D
	v_fma_f32 v222, v14, v4, v222                              // 000000006204: D1CB00DE 077A090E
	v_fma_f32 v223, v15, v4, v223                              // 00000000620C: D1CB00DF 077E090F
	v_mfma_f32_16x16x32_fp8_fp8 v[12:15], a[232:233], a[16:17], 0// 000000006214: D3F3000C 1A0221E8
	s_add_u32 s20, s57, s20                                    // 00000000621C: 80141439
	s_addc_u32 s21, 0, s21                                     // 000000006220: 82151580
	s_add_u32 s28, s3, s28                                     // 000000006224: 801C1C03
	s_addc_u32 s29, 0, s29                                     // 000000006228: 821D1D80
	v_mfma_f32_16x16x32_fp8_fp8 v[12:15], a[234:235], a[18:19], v[12:15]// 00000000622C: D3F3000C 1C3225EA
	s_add_u32 s84, s83, s84                                    // 000000006234: 80545453
	s_addc_u32 s85, 0, s85                                     // 000000006238: 82555580
	v_mfma_f32_16x16x32_fp8_fp8 v[12:15], a[236:237], a[20:21], v[12:15]// 00000000623C: D3F3000C 1C3229EC
	s_add_u32 s32, s4, s32                                     // 000000006244: 80202004
	s_addc_u32 s33, 0, s33                                     // 000000006248: 82212180
	v_mfma_f32_16x16x32_fp8_fp8 v[12:15], a[238:239], a[22:23], v[12:15]// 00000000624C: D3F3000C 1C322DEE
	v_fma_f32 v232, v8, v6, v232                               // 000000006254: D1CB00E8 07A20D08
	v_fma_f32 v233, v9, v6, v233                               // 00000000625C: D1CB00E9 07A60D09
	v_fma_f32 v234, v10, v6, v234                              // 000000006264: D1CB00EA 07AA0D0A
	v_fma_f32 v235, v11, v6, v235                              // 00000000626C: D1CB00EB 07AE0D0B
	v_fma_f32 v244, v12, v6, v244                              // 000000006274: D1CB00F4 07D20D0C
	v_fma_f32 v245, v13, v6, v245                              // 00000000627C: D1CB00F5 07D60D0D
	v_fma_f32 v246, v14, v6, v246                              // 000000006284: D1CB00F6 07DA0D0E
	v_fma_f32 v247, v15, v6, v247                              // 00000000628C: D1CB00F7 07DE0D0F
	s_addk_i32 s80, 0x80                                       // 000000006294: B7500080
	s_cmp_lt_i32 s80, s81                                      // 000000006298: BF045150
	s_cbranch_scc0 label_195A                                  // 00000000629C: BF840B32
	s_waitcnt vmcnt(26) lgkmcnt(0)                             // 0000000062A0: BF8C407A
	v_mul_f32_dpp v4, v24, v33 row_newbcast:0 row_mask:0xf bank_mask:0xf// 0000000062A4: 0A0842FA FF015018
	v_mfma_f32_16x16x32_fp8_fp8 v[8:11], a[48:49], a[24:25], 0 // 0000000062AC: D3F30008 1A023130
	buffer_load_dword v25, v22, s[32:35], 0 offen              // 0000000062B4: E0501000 80081916
	v_mfma_f32_16x16x32_fp8_fp8 v[8:11], a[50:51], a[26:27], v[8:11]// 0000000062BC: D3F30008 1C223532
	buffer_load_dwordx4 a[176:179], v48, s[24:27], 0 offen     // 0000000062C4: E05C1000 8086B030
	v_mfma_f32_16x16x32_fp8_fp8 v[8:11], a[52:53], a[28:29], v[8:11]// 0000000062CC: D3F30008 1C223934
	v_mfma_f32_16x16x32_fp8_fp8 v[8:11], a[54:55], a[30:31], v[8:11]// 0000000062D4: D3F30008 1C223D36
	v_mfma_f32_16x16x32_fp8_fp8 v[12:15], a[56:57], a[24:25], 0// 0000000062DC: D3F3000C 1A023138
	v_mfma_f32_16x16x32_fp8_fp8 v[12:15], a[58:59], a[26:27], v[12:15]// 0000000062E4: D3F3000C 1C32353A
	buffer_load_dwordx4 a[180:183], v48, s[24:27], 0 offen offset:1024// 0000000062EC: E05C1400 8086B430
	v_mfma_f32_16x16x32_fp8_fp8 v[12:15], a[60:61], a[28:29], v[12:15]// 0000000062F4: D3F3000C 1C32393C
	v_mfma_f32_16x16x32_fp8_fp8 v[12:15], a[62:63], a[30:31], v[12:15]// 0000000062FC: D3F3000C 1C323D3E
	v_fma_f32 v56, v8, v4, v56                                 // 000000006304: D1CB0038 04E20908
	v_fma_f32 v57, v9, v4, v57                                 // 00000000630C: D1CB0039 04E60909
	v_fma_f32 v58, v10, v4, v58                                // 000000006314: D1CB003A 04EA090A
	v_fma_f32 v59, v11, v4, v59                                // 00000000631C: D1CB003B 04EE090B
	v_mul_f32_dpp v6, v24, v33 row_newbcast:1 row_mask:0xf bank_mask:0xf// 000000006324: 0A0C42FA FF015118
	v_mfma_f32_16x16x32_fp8_fp8 v[8:11], a[64:65], a[24:25], 0 // 00000000632C: D3F30008 1A023140
	v_mfma_f32_16x16x32_fp8_fp8 v[8:11], a[66:67], a[26:27], v[8:11]// 000000006334: D3F30008 1C223542
	buffer_load_dwordx4 a[184:187], v49, s[24:27], 0 offen     // 00000000633C: E05C1000 8086B831
	v_mfma_f32_16x16x32_fp8_fp8 v[8:11], a[68:69], a[28:29], v[8:11]// 000000006344: D3F30008 1C223944
	v_mfma_f32_16x16x32_fp8_fp8 v[8:11], a[70:71], a[30:31], v[8:11]// 00000000634C: D3F30008 1C223D46
	v_fma_f32 v68, v12, v4, v68                                // 000000006354: D1CB0044 0512090C
	v_fma_f32 v69, v13, v4, v69                                // 00000000635C: D1CB0045 0516090D
	v_fma_f32 v70, v14, v4, v70                                // 000000006364: D1CB0046 051A090E
	v_fma_f32 v71, v15, v4, v71                                // 00000000636C: D1CB0047 051E090F
	v_mfma_f32_16x16x32_fp8_fp8 v[12:15], a[72:73], a[24:25], 0// 000000006374: D3F3000C 1A023148
	v_mfma_f32_16x16x32_fp8_fp8 v[12:15], a[74:75], a[26:27], v[12:15]// 00000000637C: D3F3000C 1C32354A
	buffer_load_dwordx4 a[188:191], v49, s[24:27], 0 offen offset:1024// 000000006384: E05C1400 8086BC31
	v_mfma_f32_16x16x32_fp8_fp8 v[12:15], a[76:77], a[28:29], v[12:15]// 00000000638C: D3F3000C 1C32394C
	v_mfma_f32_16x16x32_fp8_fp8 v[12:15], a[78:79], a[30:31], v[12:15]// 000000006394: D3F3000C 1C323D4E
	v_fma_f32 v80, v8, v6, v80                                 // 00000000639C: D1CB0050 05420D08
	v_fma_f32 v81, v9, v6, v81                                 // 0000000063A4: D1CB0051 05460D09
	v_fma_f32 v82, v10, v6, v82                                // 0000000063AC: D1CB0052 054A0D0A
	v_fma_f32 v83, v11, v6, v83                                // 0000000063B4: D1CB0053 054E0D0B
	v_mul_f32_dpp v4, v24, v33 row_newbcast:2 row_mask:0xf bank_mask:0xf// 0000000063BC: 0A0842FA FF015218
	v_mfma_f32_16x16x32_fp8_fp8 v[8:11], a[80:81], a[24:25], 0 // 0000000063C4: D3F30008 1A023150
	v_mfma_f32_16x16x32_fp8_fp8 v[8:11], a[82:83], a[26:27], v[8:11]// 0000000063CC: D3F30008 1C223552
	buffer_load_dwordx4 a[192:195], v50, s[24:27], 0 offen     // 0000000063D4: E05C1000 8086C032
	v_mfma_f32_16x16x32_fp8_fp8 v[8:11], a[84:85], a[28:29], v[8:11]// 0000000063DC: D3F30008 1C223954
	v_mfma_f32_16x16x32_fp8_fp8 v[8:11], a[86:87], a[30:31], v[8:11]// 0000000063E4: D3F30008 1C223D56
	v_fma_f32 v92, v12, v6, v92                                // 0000000063EC: D1CB005C 05720D0C
	v_fma_f32 v93, v13, v6, v93                                // 0000000063F4: D1CB005D 05760D0D
	v_fma_f32 v94, v14, v6, v94                                // 0000000063FC: D1CB005E 057A0D0E
	v_fma_f32 v95, v15, v6, v95                                // 000000006404: D1CB005F 057E0D0F
	v_mfma_f32_16x16x32_fp8_fp8 v[12:15], a[88:89], a[24:25], 0// 00000000640C: D3F3000C 1A023158
	v_mfma_f32_16x16x32_fp8_fp8 v[12:15], a[90:91], a[26:27], v[12:15]// 000000006414: D3F3000C 1C32355A
	buffer_load_dwordx4 a[196:199], v50, s[24:27], 0 offen offset:1024// 00000000641C: E05C1400 8086C432
	v_mfma_f32_16x16x32_fp8_fp8 v[12:15], a[92:93], a[28:29], v[12:15]// 000000006424: D3F3000C 1C32395C
	v_mfma_f32_16x16x32_fp8_fp8 v[12:15], a[94:95], a[30:31], v[12:15]// 00000000642C: D3F3000C 1C323D5E
	v_fma_f32 v104, v8, v4, v104                               // 000000006434: D1CB0068 05A20908
	v_fma_f32 v105, v9, v4, v105                               // 00000000643C: D1CB0069 05A60909
	v_fma_f32 v106, v10, v4, v106                              // 000000006444: D1CB006A 05AA090A
	v_fma_f32 v107, v11, v4, v107                              // 00000000644C: D1CB006B 05AE090B
	v_mul_f32_dpp v6, v24, v33 row_newbcast:3 row_mask:0xf bank_mask:0xf// 000000006454: 0A0C42FA FF015318
	v_mfma_f32_16x16x32_fp8_fp8 v[8:11], a[96:97], a[24:25], 0 // 00000000645C: D3F30008 1A023160
	v_mfma_f32_16x16x32_fp8_fp8 v[8:11], a[98:99], a[26:27], v[8:11]// 000000006464: D3F30008 1C223562
	buffer_load_dwordx4 a[200:203], v51, s[24:27], 0 offen     // 00000000646C: E05C1000 8086C833
	v_mfma_f32_16x16x32_fp8_fp8 v[8:11], a[100:101], a[28:29], v[8:11]// 000000006474: D3F30008 1C223964
	v_mfma_f32_16x16x32_fp8_fp8 v[8:11], a[102:103], a[30:31], v[8:11]// 00000000647C: D3F30008 1C223D66
	v_fma_f32 v116, v12, v4, v116                              // 000000006484: D1CB0074 05D2090C
	v_fma_f32 v117, v13, v4, v117                              // 00000000648C: D1CB0075 05D6090D
	v_fma_f32 v118, v14, v4, v118                              // 000000006494: D1CB0076 05DA090E
	v_fma_f32 v119, v15, v4, v119                              // 00000000649C: D1CB0077 05DE090F
	v_mfma_f32_16x16x32_fp8_fp8 v[12:15], a[104:105], a[24:25], 0// 0000000064A4: D3F3000C 1A023168
	v_mfma_f32_16x16x32_fp8_fp8 v[12:15], a[106:107], a[26:27], v[12:15]// 0000000064AC: D3F3000C 1C32356A
	buffer_load_dwordx4 a[204:207], v51, s[24:27], 0 offen offset:1024// 0000000064B4: E05C1400 8086CC33
	v_mfma_f32_16x16x32_fp8_fp8 v[12:15], a[108:109], a[28:29], v[12:15]// 0000000064BC: D3F3000C 1C32396C
	v_mfma_f32_16x16x32_fp8_fp8 v[12:15], a[110:111], a[30:31], v[12:15]// 0000000064C4: D3F3000C 1C323D6E
	v_fma_f32 v128, v8, v6, v128                               // 0000000064CC: D1CB0080 06020D08
	v_fma_f32 v129, v9, v6, v129                               // 0000000064D4: D1CB0081 06060D09
	v_fma_f32 v130, v10, v6, v130                              // 0000000064DC: D1CB0082 060A0D0A
	v_fma_f32 v131, v11, v6, v131                              // 0000000064E4: D1CB0083 060E0D0B
	v_mul_f32_dpp v4, v24, v34 row_newbcast:0 row_mask:0xf bank_mask:0xf// 0000000064EC: 0A0844FA FF015018
	v_mfma_f32_16x16x32_fp8_fp8 v[8:11], a[48:49], a[32:33], 0 // 0000000064F4: D3F30008 1A024130
	v_mfma_f32_16x16x32_fp8_fp8 v[8:11], a[50:51], a[34:35], v[8:11]// 0000000064FC: D3F30008 1C224532
	buffer_load_dwordx4 a[208:211], v52, s[24:27], 0 offen     // 000000006504: E05C1000 8086D034
	v_mfma_f32_16x16x32_fp8_fp8 v[8:11], a[52:53], a[36:37], v[8:11]// 00000000650C: D3F30008 1C224934
	v_mfma_f32_16x16x32_fp8_fp8 v[8:11], a[54:55], a[38:39], v[8:11]// 000000006514: D3F30008 1C224D36
	v_fma_f32 v140, v12, v6, v140                              // 00000000651C: D1CB008C 06320D0C
	v_fma_f32 v141, v13, v6, v141                              // 000000006524: D1CB008D 06360D0D
	v_fma_f32 v142, v14, v6, v142                              // 00000000652C: D1CB008E 063A0D0E
	v_fma_f32 v143, v15, v6, v143                              // 000000006534: D1CB008F 063E0D0F
	v_mfma_f32_16x16x32_fp8_fp8 v[12:15], a[56:57], a[32:33], 0// 00000000653C: D3F3000C 1A024138
	v_mfma_f32_16x16x32_fp8_fp8 v[12:15], a[58:59], a[34:35], v[12:15]// 000000006544: D3F3000C 1C32453A
	buffer_load_dwordx4 a[212:215], v52, s[24:27], 0 offen offset:1024// 00000000654C: E05C1400 8086D434
	v_mfma_f32_16x16x32_fp8_fp8 v[12:15], a[60:61], a[36:37], v[12:15]// 000000006554: D3F3000C 1C32493C
	v_mfma_f32_16x16x32_fp8_fp8 v[12:15], a[62:63], a[38:39], v[12:15]// 00000000655C: D3F3000C 1C324D3E
	v_fma_f32 v60, v8, v4, v60                                 // 000000006564: D1CB003C 04F20908
	v_fma_f32 v61, v9, v4, v61                                 // 00000000656C: D1CB003D 04F60909
	v_fma_f32 v62, v10, v4, v62                                // 000000006574: D1CB003E 04FA090A
	v_fma_f32 v63, v11, v4, v63                                // 00000000657C: D1CB003F 04FE090B
	v_mul_f32_dpp v6, v24, v34 row_newbcast:1 row_mask:0xf bank_mask:0xf// 000000006584: 0A0C44FA FF015118
	v_mfma_f32_16x16x32_fp8_fp8 v[8:11], a[64:65], a[32:33], 0 // 00000000658C: D3F30008 1A024140
	v_mfma_f32_16x16x32_fp8_fp8 v[8:11], a[66:67], a[34:35], v[8:11]// 000000006594: D3F30008 1C224542
	buffer_load_dwordx4 a[216:219], v53, s[24:27], 0 offen     // 00000000659C: E05C1000 8086D835
	v_mfma_f32_16x16x32_fp8_fp8 v[8:11], a[68:69], a[36:37], v[8:11]// 0000000065A4: D3F30008 1C224944
	v_mfma_f32_16x16x32_fp8_fp8 v[8:11], a[70:71], a[38:39], v[8:11]// 0000000065AC: D3F30008 1C224D46
	v_fma_f32 v72, v12, v4, v72                                // 0000000065B4: D1CB0048 0522090C
	v_fma_f32 v73, v13, v4, v73                                // 0000000065BC: D1CB0049 0526090D
	v_fma_f32 v74, v14, v4, v74                                // 0000000065C4: D1CB004A 052A090E
	v_fma_f32 v75, v15, v4, v75                                // 0000000065CC: D1CB004B 052E090F
	v_mfma_f32_16x16x32_fp8_fp8 v[12:15], a[72:73], a[32:33], 0// 0000000065D4: D3F3000C 1A024148
	v_mfma_f32_16x16x32_fp8_fp8 v[12:15], a[74:75], a[34:35], v[12:15]// 0000000065DC: D3F3000C 1C32454A
	buffer_load_dwordx4 a[220:223], v53, s[24:27], 0 offen offset:1024// 0000000065E4: E05C1400 8086DC35
	v_mfma_f32_16x16x32_fp8_fp8 v[12:15], a[76:77], a[36:37], v[12:15]// 0000000065EC: D3F3000C 1C32494C
	v_mfma_f32_16x16x32_fp8_fp8 v[12:15], a[78:79], a[38:39], v[12:15]// 0000000065F4: D3F3000C 1C324D4E
	v_fma_f32 v84, v8, v6, v84                                 // 0000000065FC: D1CB0054 05520D08
	v_fma_f32 v85, v9, v6, v85                                 // 000000006604: D1CB0055 05560D09
	v_fma_f32 v86, v10, v6, v86                                // 00000000660C: D1CB0056 055A0D0A
	v_fma_f32 v87, v11, v6, v87                                // 000000006614: D1CB0057 055E0D0B
	v_mul_f32_dpp v4, v24, v34 row_newbcast:2 row_mask:0xf bank_mask:0xf// 00000000661C: 0A0844FA FF015218
	v_mfma_f32_16x16x32_fp8_fp8 v[8:11], a[80:81], a[32:33], 0 // 000000006624: D3F30008 1A024150
	v_mfma_f32_16x16x32_fp8_fp8 v[8:11], a[82:83], a[34:35], v[8:11]// 00000000662C: D3F30008 1C224552
	buffer_load_dwordx4 a[224:227], v54, s[24:27], 0 offen     // 000000006634: E05C1000 8086E036
	v_mfma_f32_16x16x32_fp8_fp8 v[8:11], a[84:85], a[36:37], v[8:11]// 00000000663C: D3F30008 1C224954
	v_mfma_f32_16x16x32_fp8_fp8 v[8:11], a[86:87], a[38:39], v[8:11]// 000000006644: D3F30008 1C224D56
	v_fma_f32 v96, v12, v6, v96                                // 00000000664C: D1CB0060 05820D0C
	v_fma_f32 v97, v13, v6, v97                                // 000000006654: D1CB0061 05860D0D
	v_fma_f32 v98, v14, v6, v98                                // 00000000665C: D1CB0062 058A0D0E
	v_fma_f32 v99, v15, v6, v99                                // 000000006664: D1CB0063 058E0D0F
	v_mfma_f32_16x16x32_fp8_fp8 v[12:15], a[88:89], a[32:33], 0// 00000000666C: D3F3000C 1A024158
	v_mfma_f32_16x16x32_fp8_fp8 v[12:15], a[90:91], a[34:35], v[12:15]// 000000006674: D3F3000C 1C32455A
	buffer_load_dwordx4 a[228:231], v54, s[24:27], 0 offen offset:1024// 00000000667C: E05C1400 8086E436
	v_mfma_f32_16x16x32_fp8_fp8 v[12:15], a[92:93], a[36:37], v[12:15]// 000000006684: D3F3000C 1C32495C
	v_mfma_f32_16x16x32_fp8_fp8 v[12:15], a[94:95], a[38:39], v[12:15]// 00000000668C: D3F3000C 1C324D5E
	v_fma_f32 v108, v8, v4, v108                               // 000000006694: D1CB006C 05B20908
	v_fma_f32 v109, v9, v4, v109                               // 00000000669C: D1CB006D 05B60909
	v_fma_f32 v110, v10, v4, v110                              // 0000000066A4: D1CB006E 05BA090A
	v_fma_f32 v111, v11, v4, v111                              // 0000000066AC: D1CB006F 05BE090B
	v_mul_f32_dpp v6, v24, v34 row_newbcast:3 row_mask:0xf bank_mask:0xf// 0000000066B4: 0A0C44FA FF015318
	v_mfma_f32_16x16x32_fp8_fp8 v[8:11], a[96:97], a[32:33], 0 // 0000000066BC: D3F30008 1A024160
	v_mfma_f32_16x16x32_fp8_fp8 v[8:11], a[98:99], a[34:35], v[8:11]// 0000000066C4: D3F30008 1C224562
	buffer_load_dwordx4 a[232:235], v55, s[24:27], 0 offen     // 0000000066CC: E05C1000 8086E837
	v_mfma_f32_16x16x32_fp8_fp8 v[8:11], a[100:101], a[36:37], v[8:11]// 0000000066D4: D3F30008 1C224964
	v_mfma_f32_16x16x32_fp8_fp8 v[8:11], a[102:103], a[38:39], v[8:11]// 0000000066DC: D3F30008 1C224D66
	v_fma_f32 v120, v12, v4, v120                              // 0000000066E4: D1CB0078 05E2090C
	v_fma_f32 v121, v13, v4, v121                              // 0000000066EC: D1CB0079 05E6090D
	v_fma_f32 v122, v14, v4, v122                              // 0000000066F4: D1CB007A 05EA090E
	v_fma_f32 v123, v15, v4, v123                              // 0000000066FC: D1CB007B 05EE090F
	v_mfma_f32_16x16x32_fp8_fp8 v[12:15], a[104:105], a[32:33], 0// 000000006704: D3F3000C 1A024168
	v_mfma_f32_16x16x32_fp8_fp8 v[12:15], a[106:107], a[34:35], v[12:15]// 00000000670C: D3F3000C 1C32456A
	buffer_load_dwordx4 a[236:239], v55, s[24:27], 0 offen offset:1024// 000000006714: E05C1400 8086EC37
	buffer_load_dword v42, s[20:23], 0 offen lds               // 00000000671C: E0511000 8005002A
	s_add_u32 m0, 0x100, s50                                   // 000000006724: 807C32FF 00000100
	v_mfma_f32_16x16x32_fp8_fp8 v[12:15], a[108:109], a[36:37], v[12:15]// 00000000672C: D3F3000C 1C32496C
	v_mfma_f32_16x16x32_fp8_fp8 v[12:15], a[110:111], a[38:39], v[12:15]// 000000006734: D3F3000C 1C324D6E
	buffer_load_dword v43, s[20:23], 0 offen lds               // 00000000673C: E0511000 8005002B
	s_add_u32 m0, 0x200, s50                                   // 000000006744: 807C32FF 00000200
	v_fma_f32 v132, v8, v6, v132                               // 00000000674C: D1CB0084 06120D08
	v_fma_f32 v133, v9, v6, v133                               // 000000006754: D1CB0085 06160D09
	v_fma_f32 v134, v10, v6, v134                              // 00000000675C: D1CB0086 061A0D0A
	v_fma_f32 v135, v11, v6, v135                              // 000000006764: D1CB0087 061E0D0B
	v_mul_f32_dpp v4, v24, v35 row_newbcast:0 row_mask:0xf bank_mask:0xf// 00000000676C: 0A0846FA FF015018
	v_mfma_f32_16x16x32_fp8_fp8 v[8:11], a[48:49], a[40:41], 0 // 000000006774: D3F30008 1A025130
	v_mfma_f32_16x16x32_fp8_fp8 v[8:11], a[50:51], a[42:43], v[8:11]// 00000000677C: D3F30008 1C225532
	buffer_load_dword v44, s[20:23], 0 offen lds               // 000000006784: E0511000 8005002C
	s_add_u32 m0, 0x300, s50                                   // 00000000678C: 807C32FF 00000300
	v_mfma_f32_16x16x32_fp8_fp8 v[8:11], a[52:53], a[44:45], v[8:11]// 000000006794: D3F30008 1C225934
	v_mfma_f32_16x16x32_fp8_fp8 v[8:11], a[54:55], a[46:47], v[8:11]// 00000000679C: D3F30008 1C225D36
	buffer_load_dword v45, s[20:23], 0 offen lds               // 0000000067A4: E0511000 8005002D
	s_add_u32 m0, 0x400, s50                                   // 0000000067AC: 807C32FF 00000400
	v_fma_f32 v144, v12, v6, v144                              // 0000000067B4: D1CB0090 06420D0C
	v_fma_f32 v145, v13, v6, v145                              // 0000000067BC: D1CB0091 06460D0D
	v_fma_f32 v146, v14, v6, v146                              // 0000000067C4: D1CB0092 064A0D0E
	v_fma_f32 v147, v15, v6, v147                              // 0000000067CC: D1CB0093 064E0D0F
	v_mfma_f32_16x16x32_fp8_fp8 v[12:15], a[56:57], a[40:41], 0// 0000000067D4: D3F3000C 1A025138
	v_mfma_f32_16x16x32_fp8_fp8 v[12:15], a[58:59], a[42:43], v[12:15]// 0000000067DC: D3F3000C 1C32553A
	buffer_load_dword v46, s[20:23], 0 offen lds               // 0000000067E4: E0511000 8005002E
	s_add_u32 m0, 0x500, s50                                   // 0000000067EC: 807C32FF 00000500
	v_mfma_f32_16x16x32_fp8_fp8 v[12:15], a[60:61], a[44:45], v[12:15]// 0000000067F4: D3F3000C 1C32593C
	v_mfma_f32_16x16x32_fp8_fp8 v[12:15], a[62:63], a[46:47], v[12:15]// 0000000067FC: D3F3000C 1C325D3E
	buffer_load_dword v47, s[20:23], 0 offen lds               // 000000006804: E0511000 8005002F
	s_add_u32 m0, 0, s48                                       // 00000000680C: 807C3080
	v_fma_f32 v64, v8, v4, v64                                 // 000000006810: D1CB0040 05020908
	v_fma_f32 v65, v9, v4, v65                                 // 000000006818: D1CB0041 05060909
	v_fma_f32 v66, v10, v4, v66                                // 000000006820: D1CB0042 050A090A
	v_fma_f32 v67, v11, v4, v67                                // 000000006828: D1CB0043 050E090B
	v_mul_f32_dpp v6, v24, v35 row_newbcast:1 row_mask:0xf bank_mask:0xf// 000000006830: 0A0C46FA FF015118
	v_mfma_f32_16x16x32_fp8_fp8 v[8:11], a[64:65], a[40:41], 0 // 000000006838: D3F30008 1A025140
	v_mfma_f32_16x16x32_fp8_fp8 v[8:11], a[66:67], a[42:43], v[8:11]// 000000006840: D3F30008 1C225542
	buffer_load_dword v39, v30, s[28:31], 0 offen              // 000000006848: E0501000 8007271E
	v_mfma_f32_16x16x32_fp8_fp8 v[8:11], a[68:69], a[44:45], v[8:11]// 000000006850: D3F30008 1C225944
	v_mfma_f32_16x16x32_fp8_fp8 v[8:11], a[70:71], a[46:47], v[8:11]// 000000006858: D3F30008 1C225D46
	buffer_load_dword v40, v31, s[28:31], 0 offen              // 000000006860: E0501000 8007281F
	v_fma_f32 v76, v12, v4, v76                                // 000000006868: D1CB004C 0532090C
	v_fma_f32 v77, v13, v4, v77                                // 000000006870: D1CB004D 0536090D
	v_fma_f32 v78, v14, v4, v78                                // 000000006878: D1CB004E 053A090E
	v_fma_f32 v79, v15, v4, v79                                // 000000006880: D1CB004F 053E090F
	v_mfma_f32_16x16x32_fp8_fp8 v[12:15], a[72:73], a[40:41], 0// 000000006888: D3F3000C 1A025148
	v_mfma_f32_16x16x32_fp8_fp8 v[12:15], a[74:75], a[42:43], v[12:15]// 000000006890: D3F3000C 1C32554A
	buffer_load_dword v41, v32, s[28:31], 0 offen              // 000000006898: E0501000 80072920
	v_mfma_f32_16x16x32_fp8_fp8 v[12:15], a[76:77], a[44:45], v[12:15]// 0000000068A0: D3F3000C 1C32594C
	v_mfma_f32_16x16x32_fp8_fp8 v[12:15], a[78:79], a[46:47], v[12:15]// 0000000068A8: D3F3000C 1C325D4E
	v_fma_f32 v88, v8, v6, v88                                 // 0000000068B0: D1CB0058 05620D08
	v_fma_f32 v89, v9, v6, v89                                 // 0000000068B8: D1CB0059 05660D09
	v_fma_f32 v90, v10, v6, v90                                // 0000000068C0: D1CB005A 056A0D0A
	v_fma_f32 v91, v11, v6, v91                                // 0000000068C8: D1CB005B 056E0D0B
	v_mul_f32_dpp v4, v24, v35 row_newbcast:2 row_mask:0xf bank_mask:0xf// 0000000068D0: 0A0846FA FF015218
	v_mfma_f32_16x16x32_fp8_fp8 v[8:11], a[80:81], a[40:41], 0 // 0000000068D8: D3F30008 1A025150
	v_mfma_f32_16x16x32_fp8_fp8 v[8:11], a[82:83], a[42:43], v[8:11]// 0000000068E0: D3F30008 1C225552
	v_mfma_f32_16x16x32_fp8_fp8 v[8:11], a[84:85], a[44:45], v[8:11]// 0000000068E8: D3F30008 1C225954
	v_mfma_f32_16x16x32_fp8_fp8 v[8:11], a[86:87], a[46:47], v[8:11]// 0000000068F0: D3F30008 1C225D56
	v_fma_f32 v100, v12, v6, v100                              // 0000000068F8: D1CB0064 05920D0C
	v_fma_f32 v101, v13, v6, v101                              // 000000006900: D1CB0065 05960D0D
	v_fma_f32 v102, v14, v6, v102                              // 000000006908: D1CB0066 059A0D0E
	v_fma_f32 v103, v15, v6, v103                              // 000000006910: D1CB0067 059E0D0F
	v_mfma_f32_16x16x32_fp8_fp8 v[12:15], a[88:89], a[40:41], 0// 000000006918: D3F3000C 1A025158
	v_mfma_f32_16x16x32_fp8_fp8 v[12:15], a[90:91], a[42:43], v[12:15]// 000000006920: D3F3000C 1C32555A
	v_mfma_f32_16x16x32_fp8_fp8 v[12:15], a[92:93], a[44:45], v[12:15]// 000000006928: D3F3000C 1C32595C
	v_mfma_f32_16x16x32_fp8_fp8 v[12:15], a[94:95], a[46:47], v[12:15]// 000000006930: D3F3000C 1C325D5E
	v_fma_f32 v112, v8, v4, v112                               // 000000006938: D1CB0070 05C20908
	v_fma_f32 v113, v9, v4, v113                               // 000000006940: D1CB0071 05C60909
	v_fma_f32 v114, v10, v4, v114                              // 000000006948: D1CB0072 05CA090A
	v_fma_f32 v115, v11, v4, v115                              // 000000006950: D1CB0073 05CE090B
	v_mul_f32_dpp v6, v24, v35 row_newbcast:3 row_mask:0xf bank_mask:0xf// 000000006958: 0A0C46FA FF015318
	v_mfma_f32_16x16x32_fp8_fp8 v[8:11], a[96:97], a[40:41], 0 // 000000006960: D3F30008 1A025160
	v_mfma_f32_16x16x32_fp8_fp8 v[8:11], a[98:99], a[42:43], v[8:11]// 000000006968: D3F30008 1C225562
	v_mfma_f32_16x16x32_fp8_fp8 v[8:11], a[100:101], a[44:45], v[8:11]// 000000006970: D3F30008 1C225964
	v_mfma_f32_16x16x32_fp8_fp8 v[8:11], a[102:103], a[46:47], v[8:11]// 000000006978: D3F30008 1C225D66
	v_fma_f32 v124, v12, v4, v124                              // 000000006980: D1CB007C 05F2090C
	v_fma_f32 v125, v13, v4, v125                              // 000000006988: D1CB007D 05F6090D
	v_fma_f32 v126, v14, v4, v126                              // 000000006990: D1CB007E 05FA090E
	v_fma_f32 v127, v15, v4, v127                              // 000000006998: D1CB007F 05FE090F
	v_mfma_f32_16x16x32_fp8_fp8 v[12:15], a[104:105], a[40:41], 0// 0000000069A0: D3F3000C 1A025168
	v_mfma_f32_16x16x32_fp8_fp8 v[12:15], a[106:107], a[42:43], v[12:15]// 0000000069A8: D3F3000C 1C32556A
	v_mfma_f32_16x16x32_fp8_fp8 v[12:15], a[108:109], a[44:45], v[12:15]// 0000000069B0: D3F3000C 1C32596C
	v_mfma_f32_16x16x32_fp8_fp8 v[12:15], a[110:111], a[46:47], v[12:15]// 0000000069B8: D3F3000C 1C325D6E
	v_fma_f32 v136, v8, v6, v136                               // 0000000069C0: D1CB0088 06220D08
	v_fma_f32 v137, v9, v6, v137                               // 0000000069C8: D1CB0089 06260D09
	v_fma_f32 v138, v10, v6, v138                              // 0000000069D0: D1CB008A 062A0D0A
	v_fma_f32 v139, v11, v6, v139                              // 0000000069D8: D1CB008B 062E0D0B
	v_fma_f32 v148, v12, v6, v148                              // 0000000069E0: D1CB0094 06520D0C
	v_fma_f32 v149, v13, v6, v149                              // 0000000069E8: D1CB0095 06560D0D
	v_fma_f32 v150, v14, v6, v150                              // 0000000069F0: D1CB0096 065A0D0E
	v_fma_f32 v151, v15, v6, v151                              // 0000000069F8: D1CB0097 065E0D0F
	s_waitcnt vmcnt(26)                                        // 000000006A00: BF8C4F7A
	s_barrier                                                  // 000000006A04: BF8A0000
	v_mul_f32_dpp v4, v27, v33 row_newbcast:0 row_mask:0xf bank_mask:0xf// 000000006A08: 0A0842FA FF01501B
	v_mfma_f32_16x16x32_fp8_fp8 v[8:11], a[112:113], a[24:25], 0// 000000006A10: D3F30008 1A023170
	buffer_load_dword v28, v23, s[32:35], 0 offen              // 000000006A18: E0501000 80081C17
	v_mfma_f32_16x16x32_fp8_fp8 v[8:11], a[114:115], a[26:27], v[8:11]// 000000006A20: D3F30008 1C223572
	buffer_load_dwordx4 a[48:51], v48, s[84:87], 0 offen       // 000000006A28: E05C1000 80953030
	v_mfma_f32_16x16x32_fp8_fp8 v[8:11], a[116:117], a[28:29], v[8:11]// 000000006A30: D3F30008 1C223974
	v_mfma_f32_16x16x32_fp8_fp8 v[8:11], a[118:119], a[30:31], v[8:11]// 000000006A38: D3F30008 1C223D76
	ds_read_b128 a[0:3], v2 offset:6272                        // 000000006A40: DBFE1880 00000002
	ds_read_b128 a[4:7], v2 offset:6336                        // 000000006A48: DBFE18C0 04000002
	v_mfma_f32_16x16x32_fp8_fp8 v[12:15], a[120:121], a[24:25], 0// 000000006A50: D3F3000C 1A023178
	v_mfma_f32_16x16x32_fp8_fp8 v[12:15], a[122:123], a[26:27], v[12:15]// 000000006A58: D3F3000C 1C32357A
	buffer_load_dwordx4 a[52:55], v48, s[84:87], 0 offen offset:1024// 000000006A60: E05C1400 80953430
	v_mfma_f32_16x16x32_fp8_fp8 v[12:15], a[124:125], a[28:29], v[12:15]// 000000006A68: D3F3000C 1C32397C
	v_mfma_f32_16x16x32_fp8_fp8 v[12:15], a[126:127], a[30:31], v[12:15]// 000000006A70: D3F3000C 1C323D7E
	ds_read_b128 a[8:11], v2 offset:6784                       // 000000006A78: DBFE1A80 08000002
	ds_read_b128 a[12:15], v2 offset:6848                      // 000000006A80: DBFE1AC0 0C000002
	v_fma_f32 v152, v8, v4, v152                               // 000000006A88: D1CB0098 06620908
	v_fma_f32 v153, v9, v4, v153                               // 000000006A90: D1CB0099 06660909
	v_fma_f32 v154, v10, v4, v154                              // 000000006A98: D1CB009A 066A090A
	v_fma_f32 v155, v11, v4, v155                              // 000000006AA0: D1CB009B 066E090B
	v_mul_f32_dpp v6, v27, v33 row_newbcast:1 row_mask:0xf bank_mask:0xf// 000000006AA8: 0A0C42FA FF01511B
	v_mfma_f32_16x16x32_fp8_fp8 v[8:11], a[128:129], a[24:25], 0// 000000006AB0: D3F30008 1A023180
	v_mfma_f32_16x16x32_fp8_fp8 v[8:11], a[130:131], a[26:27], v[8:11]// 000000006AB8: D3F30008 1C223582
	buffer_load_dwordx4 a[56:59], v49, s[84:87], 0 offen       // 000000006AC0: E05C1000 80953831
	v_mfma_f32_16x16x32_fp8_fp8 v[8:11], a[132:133], a[28:29], v[8:11]// 000000006AC8: D3F30008 1C223984
	v_mfma_f32_16x16x32_fp8_fp8 v[8:11], a[134:135], a[30:31], v[8:11]// 000000006AD0: D3F30008 1C223D86
	ds_read_b128 a[16:19], v2 offset:7296                      // 000000006AD8: DBFE1C80 10000002
	ds_read_b128 a[20:23], v2 offset:7360                      // 000000006AE0: DBFE1CC0 14000002
	v_fma_f32 v164, v12, v4, v164                              // 000000006AE8: D1CB00A4 0692090C
	v_fma_f32 v165, v13, v4, v165                              // 000000006AF0: D1CB00A5 0696090D
	v_fma_f32 v166, v14, v4, v166                              // 000000006AF8: D1CB00A6 069A090E
	v_fma_f32 v167, v15, v4, v167                              // 000000006B00: D1CB00A7 069E090F
	v_mfma_f32_16x16x32_fp8_fp8 v[12:15], a[136:137], a[24:25], 0// 000000006B08: D3F3000C 1A023188
	v_mfma_f32_16x16x32_fp8_fp8 v[12:15], a[138:139], a[26:27], v[12:15]// 000000006B10: D3F3000C 1C32358A
	buffer_load_dwordx4 a[60:63], v49, s[84:87], 0 offen offset:1024// 000000006B18: E05C1400 80953C31
	v_mfma_f32_16x16x32_fp8_fp8 v[12:15], a[140:141], a[28:29], v[12:15]// 000000006B20: D3F3000C 1C32398C
	v_mfma_f32_16x16x32_fp8_fp8 v[12:15], a[142:143], a[30:31], v[12:15]// 000000006B28: D3F3000C 1C323D8E
	v_fma_f32 v176, v8, v6, v176                               // 000000006B30: D1CB00B0 06C20D08
	v_fma_f32 v177, v9, v6, v177                               // 000000006B38: D1CB00B1 06C60D09
	v_fma_f32 v178, v10, v6, v178                              // 000000006B40: D1CB00B2 06CA0D0A
	v_fma_f32 v179, v11, v6, v179                              // 000000006B48: D1CB00B3 06CE0D0B
	v_mul_f32_dpp v4, v27, v33 row_newbcast:2 row_mask:0xf bank_mask:0xf// 000000006B50: 0A0842FA FF01521B
	v_mfma_f32_16x16x32_fp8_fp8 v[8:11], a[144:145], a[24:25], 0// 000000006B58: D3F30008 1A023190
	v_mfma_f32_16x16x32_fp8_fp8 v[8:11], a[146:147], a[26:27], v[8:11]// 000000006B60: D3F30008 1C223592
	buffer_load_dwordx4 a[64:67], v50, s[84:87], 0 offen       // 000000006B68: E05C1000 80954032
	v_mfma_f32_16x16x32_fp8_fp8 v[8:11], a[148:149], a[28:29], v[8:11]// 000000006B70: D3F30008 1C223994
	v_mfma_f32_16x16x32_fp8_fp8 v[8:11], a[150:151], a[30:31], v[8:11]// 000000006B78: D3F30008 1C223D96
	v_fma_f32 v188, v12, v6, v188                              // 000000006B80: D1CB00BC 06F20D0C
	v_fma_f32 v189, v13, v6, v189                              // 000000006B88: D1CB00BD 06F60D0D
	v_fma_f32 v190, v14, v6, v190                              // 000000006B90: D1CB00BE 06FA0D0E
	v_fma_f32 v191, v15, v6, v191                              // 000000006B98: D1CB00BF 06FE0D0F
	v_mfma_f32_16x16x32_fp8_fp8 v[12:15], a[152:153], a[24:25], 0// 000000006BA0: D3F3000C 1A023198
	v_mfma_f32_16x16x32_fp8_fp8 v[12:15], a[154:155], a[26:27], v[12:15]// 000000006BA8: D3F3000C 1C32359A
	buffer_load_dwordx4 a[68:71], v50, s[84:87], 0 offen offset:1024// 000000006BB0: E05C1400 80954432
	v_mfma_f32_16x16x32_fp8_fp8 v[12:15], a[156:157], a[28:29], v[12:15]// 000000006BB8: D3F3000C 1C32399C
	v_mfma_f32_16x16x32_fp8_fp8 v[12:15], a[158:159], a[30:31], v[12:15]// 000000006BC0: D3F3000C 1C323D9E
	v_fma_f32 v200, v8, v4, v200                               // 000000006BC8: D1CB00C8 07220908
	v_fma_f32 v201, v9, v4, v201                               // 000000006BD0: D1CB00C9 07260909
	v_fma_f32 v202, v10, v4, v202                              // 000000006BD8: D1CB00CA 072A090A
	v_fma_f32 v203, v11, v4, v203                              // 000000006BE0: D1CB00CB 072E090B
	v_mul_f32_dpp v6, v27, v33 row_newbcast:3 row_mask:0xf bank_mask:0xf// 000000006BE8: 0A0C42FA FF01531B
	v_mfma_f32_16x16x32_fp8_fp8 v[8:11], a[160:161], a[24:25], 0// 000000006BF0: D3F30008 1A0231A0
	v_mfma_f32_16x16x32_fp8_fp8 v[8:11], a[162:163], a[26:27], v[8:11]// 000000006BF8: D3F30008 1C2235A2
	buffer_load_dwordx4 a[72:75], v51, s[84:87], 0 offen       // 000000006C00: E05C1000 80954833
	v_mfma_f32_16x16x32_fp8_fp8 v[8:11], a[164:165], a[28:29], v[8:11]// 000000006C08: D3F30008 1C2239A4
	v_mfma_f32_16x16x32_fp8_fp8 v[8:11], a[166:167], a[30:31], v[8:11]// 000000006C10: D3F30008 1C223DA6
	v_fma_f32 v212, v12, v4, v212                              // 000000006C18: D1CB00D4 0752090C
	v_fma_f32 v213, v13, v4, v213                              // 000000006C20: D1CB00D5 0756090D
	v_fma_f32 v214, v14, v4, v214                              // 000000006C28: D1CB00D6 075A090E
	v_fma_f32 v215, v15, v4, v215                              // 000000006C30: D1CB00D7 075E090F
	v_mfma_f32_16x16x32_fp8_fp8 v[12:15], a[168:169], a[24:25], 0// 000000006C38: D3F3000C 1A0231A8
	v_mfma_f32_16x16x32_fp8_fp8 v[12:15], a[170:171], a[26:27], v[12:15]// 000000006C40: D3F3000C 1C3235AA
	buffer_load_dwordx4 a[76:79], v51, s[84:87], 0 offen offset:1024// 000000006C48: E05C1400 80954C33
	v_mfma_f32_16x16x32_fp8_fp8 v[12:15], a[172:173], a[28:29], v[12:15]// 000000006C50: D3F3000C 1C3239AC
	v_mfma_f32_16x16x32_fp8_fp8 v[12:15], a[174:175], a[30:31], v[12:15]// 000000006C58: D3F3000C 1C323DAE
	v_fma_f32 v224, v8, v6, v224                               // 000000006C60: D1CB00E0 07820D08
	v_fma_f32 v225, v9, v6, v225                               // 000000006C68: D1CB00E1 07860D09
	v_fma_f32 v226, v10, v6, v226                              // 000000006C70: D1CB00E2 078A0D0A
	v_fma_f32 v227, v11, v6, v227                              // 000000006C78: D1CB00E3 078E0D0B
	v_mul_f32_dpp v4, v27, v34 row_newbcast:0 row_mask:0xf bank_mask:0xf// 000000006C80: 0A0844FA FF01501B
	v_mfma_f32_16x16x32_fp8_fp8 v[8:11], a[112:113], a[32:33], 0// 000000006C88: D3F30008 1A024170
	v_mfma_f32_16x16x32_fp8_fp8 v[8:11], a[114:115], a[34:35], v[8:11]// 000000006C90: D3F30008 1C224572
	buffer_load_dwordx4 a[80:83], v52, s[84:87], 0 offen       // 000000006C98: E05C1000 80955034
	v_mfma_f32_16x16x32_fp8_fp8 v[8:11], a[116:117], a[36:37], v[8:11]// 000000006CA0: D3F30008 1C224974
	v_mfma_f32_16x16x32_fp8_fp8 v[8:11], a[118:119], a[38:39], v[8:11]// 000000006CA8: D3F30008 1C224D76
	v_fma_f32 v236, v12, v6, v236                              // 000000006CB0: D1CB00EC 07B20D0C
	v_fma_f32 v237, v13, v6, v237                              // 000000006CB8: D1CB00ED 07B60D0D
	v_fma_f32 v238, v14, v6, v238                              // 000000006CC0: D1CB00EE 07BA0D0E
	v_fma_f32 v239, v15, v6, v239                              // 000000006CC8: D1CB00EF 07BE0D0F
	v_mfma_f32_16x16x32_fp8_fp8 v[12:15], a[120:121], a[32:33], 0// 000000006CD0: D3F3000C 1A024178
	v_mfma_f32_16x16x32_fp8_fp8 v[12:15], a[122:123], a[34:35], v[12:15]// 000000006CD8: D3F3000C 1C32457A
	buffer_load_dwordx4 a[84:87], v52, s[84:87], 0 offen offset:1024// 000000006CE0: E05C1400 80955434
	v_mfma_f32_16x16x32_fp8_fp8 v[12:15], a[124:125], a[36:37], v[12:15]// 000000006CE8: D3F3000C 1C32497C
	v_mfma_f32_16x16x32_fp8_fp8 v[12:15], a[126:127], a[38:39], v[12:15]// 000000006CF0: D3F3000C 1C324D7E
	v_fma_f32 v156, v8, v4, v156                               // 000000006CF8: D1CB009C 06720908
	v_fma_f32 v157, v9, v4, v157                               // 000000006D00: D1CB009D 06760909
	v_fma_f32 v158, v10, v4, v158                              // 000000006D08: D1CB009E 067A090A
	v_fma_f32 v159, v11, v4, v159                              // 000000006D10: D1CB009F 067E090B
	v_mul_f32_dpp v6, v27, v34 row_newbcast:1 row_mask:0xf bank_mask:0xf// 000000006D18: 0A0C44FA FF01511B
	v_mfma_f32_16x16x32_fp8_fp8 v[8:11], a[128:129], a[32:33], 0// 000000006D20: D3F30008 1A024180
	v_mfma_f32_16x16x32_fp8_fp8 v[8:11], a[130:131], a[34:35], v[8:11]// 000000006D28: D3F30008 1C224582
	buffer_load_dwordx4 a[88:91], v53, s[84:87], 0 offen       // 000000006D30: E05C1000 80955835
	v_mfma_f32_16x16x32_fp8_fp8 v[8:11], a[132:133], a[36:37], v[8:11]// 000000006D38: D3F30008 1C224984
	v_mfma_f32_16x16x32_fp8_fp8 v[8:11], a[134:135], a[38:39], v[8:11]// 000000006D40: D3F30008 1C224D86
	v_fma_f32 v168, v12, v4, v168                              // 000000006D48: D1CB00A8 06A2090C
	v_fma_f32 v169, v13, v4, v169                              // 000000006D50: D1CB00A9 06A6090D
	v_fma_f32 v170, v14, v4, v170                              // 000000006D58: D1CB00AA 06AA090E
	v_fma_f32 v171, v15, v4, v171                              // 000000006D60: D1CB00AB 06AE090F
	v_mfma_f32_16x16x32_fp8_fp8 v[12:15], a[136:137], a[32:33], 0// 000000006D68: D3F3000C 1A024188
	v_mfma_f32_16x16x32_fp8_fp8 v[12:15], a[138:139], a[34:35], v[12:15]// 000000006D70: D3F3000C 1C32458A
	buffer_load_dwordx4 a[92:95], v53, s[84:87], 0 offen offset:1024// 000000006D78: E05C1400 80955C35
	v_mfma_f32_16x16x32_fp8_fp8 v[12:15], a[140:141], a[36:37], v[12:15]// 000000006D80: D3F3000C 1C32498C
	v_mfma_f32_16x16x32_fp8_fp8 v[12:15], a[142:143], a[38:39], v[12:15]// 000000006D88: D3F3000C 1C324D8E
	v_fma_f32 v180, v8, v6, v180                               // 000000006D90: D1CB00B4 06D20D08
	v_fma_f32 v181, v9, v6, v181                               // 000000006D98: D1CB00B5 06D60D09
	v_fma_f32 v182, v10, v6, v182                              // 000000006DA0: D1CB00B6 06DA0D0A
	v_fma_f32 v183, v11, v6, v183                              // 000000006DA8: D1CB00B7 06DE0D0B
	v_mul_f32_dpp v4, v27, v34 row_newbcast:2 row_mask:0xf bank_mask:0xf// 000000006DB0: 0A0844FA FF01521B
	v_mfma_f32_16x16x32_fp8_fp8 v[8:11], a[144:145], a[32:33], 0// 000000006DB8: D3F30008 1A024190
	v_mfma_f32_16x16x32_fp8_fp8 v[8:11], a[146:147], a[34:35], v[8:11]// 000000006DC0: D3F30008 1C224592
	buffer_load_dwordx4 a[96:99], v54, s[84:87], 0 offen       // 000000006DC8: E05C1000 80956036
	v_mfma_f32_16x16x32_fp8_fp8 v[8:11], a[148:149], a[36:37], v[8:11]// 000000006DD0: D3F30008 1C224994
	v_mfma_f32_16x16x32_fp8_fp8 v[8:11], a[150:151], a[38:39], v[8:11]// 000000006DD8: D3F30008 1C224D96
	v_fma_f32 v192, v12, v6, v192                              // 000000006DE0: D1CB00C0 07020D0C
	v_fma_f32 v193, v13, v6, v193                              // 000000006DE8: D1CB00C1 07060D0D
	v_fma_f32 v194, v14, v6, v194                              // 000000006DF0: D1CB00C2 070A0D0E
	v_fma_f32 v195, v15, v6, v195                              // 000000006DF8: D1CB00C3 070E0D0F
	v_mfma_f32_16x16x32_fp8_fp8 v[12:15], a[152:153], a[32:33], 0// 000000006E00: D3F3000C 1A024198
	v_mfma_f32_16x16x32_fp8_fp8 v[12:15], a[154:155], a[34:35], v[12:15]// 000000006E08: D3F3000C 1C32459A
	buffer_load_dwordx4 a[100:103], v54, s[84:87], 0 offen offset:1024// 000000006E10: E05C1400 80956436
	v_mfma_f32_16x16x32_fp8_fp8 v[12:15], a[156:157], a[36:37], v[12:15]// 000000006E18: D3F3000C 1C32499C
	v_mfma_f32_16x16x32_fp8_fp8 v[12:15], a[158:159], a[38:39], v[12:15]// 000000006E20: D3F3000C 1C324D9E
	v_fma_f32 v204, v8, v4, v204                               // 000000006E28: D1CB00CC 07320908
	v_fma_f32 v205, v9, v4, v205                               // 000000006E30: D1CB00CD 07360909
	v_fma_f32 v206, v10, v4, v206                              // 000000006E38: D1CB00CE 073A090A
	v_fma_f32 v207, v11, v4, v207                              // 000000006E40: D1CB00CF 073E090B
	v_mul_f32_dpp v6, v27, v34 row_newbcast:3 row_mask:0xf bank_mask:0xf// 000000006E48: 0A0C44FA FF01531B
	v_mfma_f32_16x16x32_fp8_fp8 v[8:11], a[160:161], a[32:33], 0// 000000006E50: D3F30008 1A0241A0
	v_mfma_f32_16x16x32_fp8_fp8 v[8:11], a[162:163], a[34:35], v[8:11]// 000000006E58: D3F30008 1C2245A2
	buffer_load_dwordx4 a[104:107], v55, s[84:87], 0 offen     // 000000006E60: E05C1000 80956837
	v_mfma_f32_16x16x32_fp8_fp8 v[8:11], a[164:165], a[36:37], v[8:11]// 000000006E68: D3F30008 1C2249A4
	v_mfma_f32_16x16x32_fp8_fp8 v[8:11], a[166:167], a[38:39], v[8:11]// 000000006E70: D3F30008 1C224DA6
	v_fma_f32 v216, v12, v4, v216                              // 000000006E78: D1CB00D8 0762090C
	v_fma_f32 v217, v13, v4, v217                              // 000000006E80: D1CB00D9 0766090D
	v_fma_f32 v218, v14, v4, v218                              // 000000006E88: D1CB00DA 076A090E
	v_fma_f32 v219, v15, v4, v219                              // 000000006E90: D1CB00DB 076E090F
	v_mfma_f32_16x16x32_fp8_fp8 v[12:15], a[168:169], a[32:33], 0// 000000006E98: D3F3000C 1A0241A8
	v_mfma_f32_16x16x32_fp8_fp8 v[12:15], a[170:171], a[34:35], v[12:15]// 000000006EA0: D3F3000C 1C3245AA
	buffer_load_dwordx4 a[108:111], v55, s[84:87], 0 offen offset:1024// 000000006EA8: E05C1400 80956C37
	v_mfma_f32_16x16x32_fp8_fp8 v[12:15], a[172:173], a[36:37], v[12:15]// 000000006EB0: D3F3000C 1C3249AC
	v_mfma_f32_16x16x32_fp8_fp8 v[12:15], a[174:175], a[38:39], v[12:15]// 000000006EB8: D3F3000C 1C324DAE
	v_fma_f32 v228, v8, v6, v228                               // 000000006EC0: D1CB00E4 07920D08
	v_fma_f32 v229, v9, v6, v229                               // 000000006EC8: D1CB00E5 07960D09
	v_fma_f32 v230, v10, v6, v230                              // 000000006ED0: D1CB00E6 079A0D0A
	v_fma_f32 v231, v11, v6, v231                              // 000000006ED8: D1CB00E7 079E0D0B
	v_mul_f32_dpp v4, v27, v35 row_newbcast:0 row_mask:0xf bank_mask:0xf// 000000006EE0: 0A0846FA FF01501B
	v_mfma_f32_16x16x32_fp8_fp8 v[8:11], a[112:113], a[40:41], 0// 000000006EE8: D3F30008 1A025170
	v_mfma_f32_16x16x32_fp8_fp8 v[8:11], a[114:115], a[42:43], v[8:11]// 000000006EF0: D3F30008 1C225572
	v_mfma_f32_16x16x32_fp8_fp8 v[8:11], a[116:117], a[44:45], v[8:11]// 000000006EF8: D3F30008 1C225974
	v_mfma_f32_16x16x32_fp8_fp8 v[8:11], a[118:119], a[46:47], v[8:11]// 000000006F00: D3F30008 1C225D76
	v_fma_f32 v240, v12, v6, v240                              // 000000006F08: D1CB00F0 07C20D0C
	v_fma_f32 v241, v13, v6, v241                              // 000000006F10: D1CB00F1 07C60D0D
	v_fma_f32 v242, v14, v6, v242                              // 000000006F18: D1CB00F2 07CA0D0E
	v_fma_f32 v243, v15, v6, v243                              // 000000006F20: D1CB00F3 07CE0D0F
	v_mfma_f32_16x16x32_fp8_fp8 v[12:15], a[120:121], a[40:41], 0// 000000006F28: D3F3000C 1A025178
	v_mfma_f32_16x16x32_fp8_fp8 v[12:15], a[122:123], a[42:43], v[12:15]// 000000006F30: D3F3000C 1C32557A
	v_mfma_f32_16x16x32_fp8_fp8 v[12:15], a[124:125], a[44:45], v[12:15]// 000000006F38: D3F3000C 1C32597C
	v_mfma_f32_16x16x32_fp8_fp8 v[12:15], a[126:127], a[46:47], v[12:15]// 000000006F40: D3F3000C 1C325D7E
	v_fma_f32 v160, v8, v4, v160                               // 000000006F48: D1CB00A0 06820908
	v_fma_f32 v161, v9, v4, v161                               // 000000006F50: D1CB00A1 06860909
	v_fma_f32 v162, v10, v4, v162                              // 000000006F58: D1CB00A2 068A090A
	v_fma_f32 v163, v11, v4, v163                              // 000000006F60: D1CB00A3 068E090B
	v_mul_f32_dpp v6, v27, v35 row_newbcast:1 row_mask:0xf bank_mask:0xf// 000000006F68: 0A0C46FA FF01511B
	v_mfma_f32_16x16x32_fp8_fp8 v[8:11], a[128:129], a[40:41], 0// 000000006F70: D3F30008 1A025180
	v_mfma_f32_16x16x32_fp8_fp8 v[8:11], a[130:131], a[42:43], v[8:11]// 000000006F78: D3F30008 1C225582
	v_mfma_f32_16x16x32_fp8_fp8 v[8:11], a[132:133], a[44:45], v[8:11]// 000000006F80: D3F30008 1C225984
	v_mfma_f32_16x16x32_fp8_fp8 v[8:11], a[134:135], a[46:47], v[8:11]// 000000006F88: D3F30008 1C225D86
	v_fma_f32 v172, v12, v4, v172                              // 000000006F90: D1CB00AC 06B2090C
	v_fma_f32 v173, v13, v4, v173                              // 000000006F98: D1CB00AD 06B6090D
	v_fma_f32 v174, v14, v4, v174                              // 000000006FA0: D1CB00AE 06BA090E
	v_fma_f32 v175, v15, v4, v175                              // 000000006FA8: D1CB00AF 06BE090F
	v_mfma_f32_16x16x32_fp8_fp8 v[12:15], a[136:137], a[40:41], 0// 000000006FB0: D3F3000C 1A025188
	v_mfma_f32_16x16x32_fp8_fp8 v[12:15], a[138:139], a[42:43], v[12:15]// 000000006FB8: D3F3000C 1C32558A
	v_mfma_f32_16x16x32_fp8_fp8 v[12:15], a[140:141], a[44:45], v[12:15]// 000000006FC0: D3F3000C 1C32598C
	v_mfma_f32_16x16x32_fp8_fp8 v[12:15], a[142:143], a[46:47], v[12:15]// 000000006FC8: D3F3000C 1C325D8E
	v_fma_f32 v184, v8, v6, v184                               // 000000006FD0: D1CB00B8 06E20D08
	v_fma_f32 v185, v9, v6, v185                               // 000000006FD8: D1CB00B9 06E60D09
	v_fma_f32 v186, v10, v6, v186                              // 000000006FE0: D1CB00BA 06EA0D0A
	v_fma_f32 v187, v11, v6, v187                              // 000000006FE8: D1CB00BB 06EE0D0B
	v_mul_f32_dpp v4, v27, v35 row_newbcast:2 row_mask:0xf bank_mask:0xf// 000000006FF0: 0A0846FA FF01521B
	v_mfma_f32_16x16x32_fp8_fp8 v[8:11], a[144:145], a[40:41], 0// 000000006FF8: D3F30008 1A025190
	v_mfma_f32_16x16x32_fp8_fp8 v[8:11], a[146:147], a[42:43], v[8:11]// 000000007000: D3F30008 1C225592
	v_mfma_f32_16x16x32_fp8_fp8 v[8:11], a[148:149], a[44:45], v[8:11]// 000000007008: D3F30008 1C225994
	v_mfma_f32_16x16x32_fp8_fp8 v[8:11], a[150:151], a[46:47], v[8:11]// 000000007010: D3F30008 1C225D96
	v_fma_f32 v196, v12, v6, v196                              // 000000007018: D1CB00C4 07120D0C
	v_fma_f32 v197, v13, v6, v197                              // 000000007020: D1CB00C5 07160D0D
	v_fma_f32 v198, v14, v6, v198                              // 000000007028: D1CB00C6 071A0D0E
	v_fma_f32 v199, v15, v6, v199                              // 000000007030: D1CB00C7 071E0D0F
	v_mfma_f32_16x16x32_fp8_fp8 v[12:15], a[152:153], a[40:41], 0// 000000007038: D3F3000C 1A025198
	v_mfma_f32_16x16x32_fp8_fp8 v[12:15], a[154:155], a[42:43], v[12:15]// 000000007040: D3F3000C 1C32559A
	v_mfma_f32_16x16x32_fp8_fp8 v[12:15], a[156:157], a[44:45], v[12:15]// 000000007048: D3F3000C 1C32599C
	v_mfma_f32_16x16x32_fp8_fp8 v[12:15], a[158:159], a[46:47], v[12:15]// 000000007050: D3F3000C 1C325D9E
	v_fma_f32 v208, v8, v4, v208                               // 000000007058: D1CB00D0 07420908
	v_fma_f32 v209, v9, v4, v209                               // 000000007060: D1CB00D1 07460909
	v_fma_f32 v210, v10, v4, v210                              // 000000007068: D1CB00D2 074A090A
	v_fma_f32 v211, v11, v4, v211                              // 000000007070: D1CB00D3 074E090B
	v_mul_f32_dpp v6, v27, v35 row_newbcast:3 row_mask:0xf bank_mask:0xf// 000000007078: 0A0C46FA FF01531B
	v_mfma_f32_16x16x32_fp8_fp8 v[8:11], a[160:161], a[40:41], 0// 000000007080: D3F30008 1A0251A0
	s_add_u32 s60, 0x180, s80                                  // 000000007088: 803C50FF 00000180
	s_cmp_lt_u32 s60, s81                                      // 000000007090: BF0A513C
	s_cselect_b32 s57, s57, 0                                  // 000000007094: 85398039
	s_cselect_b32 s3, s3, 0                                    // 000000007098: 85038003
	v_mfma_f32_16x16x32_fp8_fp8 v[8:11], a[162:163], a[42:43], v[8:11]// 00000000709C: D3F30008 1C2255A2
	s_add_u32 s60, 0x100, s80                                  // 0000000070A4: 803C50FF 00000100
	s_cmp_lt_u32 s60, s81                                      // 0000000070AC: BF0A513C
	s_cselect_b32 s58, s58, 0                                  // 0000000070B0: 853A803A
	v_mfma_f32_16x16x32_fp8_fp8 v[8:11], a[164:165], a[44:45], v[8:11]// 0000000070B4: D3F30008 1C2259A4
	s_add_u32 s60, 0x100, s80                                  // 0000000070BC: 803C50FF 00000100
	s_cmp_lt_u32 s60, s81                                      // 0000000070C4: BF0A513C
	s_cselect_b32 s83, s83, 0                                  // 0000000070C8: 85538053
	s_cselect_b32 s4, s4, 0                                    // 0000000070CC: 85048004
	v_mfma_f32_16x16x32_fp8_fp8 v[8:11], a[166:167], a[46:47], v[8:11]// 0000000070D0: D3F30008 1C225DA6
	s_add_u32 s24, s58, s24                                    // 0000000070D8: 8018183A
	s_addc_u32 s25, 0, s25                                     // 0000000070DC: 82191980
	v_fma_f32 v220, v12, v4, v220                              // 0000000070E0: D1CB00DC 0772090C
	v_fma_f32 v221, v13, v4, v221                              // 0000000070E8: D1CB00DD 0776090D
	v_fma_f32 v222, v14, v4, v222                              // 0000000070F0: D1CB00DE 077A090E
	v_fma_f32 v223, v15, v4, v223                              // 0000000070F8: D1CB00DF 077E090F
	v_mfma_f32_16x16x32_fp8_fp8 v[12:15], a[168:169], a[40:41], 0// 000000007100: D3F3000C 1A0251A8
	s_add_u32 s20, s57, s20                                    // 000000007108: 80141439
	s_addc_u32 s21, 0, s21                                     // 00000000710C: 82151580
	s_add_u32 s28, s3, s28                                     // 000000007110: 801C1C03
	s_addc_u32 s29, 0, s29                                     // 000000007114: 821D1D80
	v_mfma_f32_16x16x32_fp8_fp8 v[12:15], a[170:171], a[42:43], v[12:15]// 000000007118: D3F3000C 1C3255AA
	s_add_u32 s84, s83, s84                                    // 000000007120: 80545453
	s_addc_u32 s85, 0, s85                                     // 000000007124: 82555580
	v_mfma_f32_16x16x32_fp8_fp8 v[12:15], a[172:173], a[44:45], v[12:15]// 000000007128: D3F3000C 1C3259AC
	s_add_u32 s32, s4, s32                                     // 000000007130: 80202004
	s_addc_u32 s33, 0, s33                                     // 000000007134: 82212180
	v_mfma_f32_16x16x32_fp8_fp8 v[12:15], a[174:175], a[46:47], v[12:15]// 000000007138: D3F3000C 1C325DAE
	v_fma_f32 v232, v8, v6, v232                               // 000000007140: D1CB00E8 07A20D08
	v_fma_f32 v233, v9, v6, v233                               // 000000007148: D1CB00E9 07A60D09
	v_fma_f32 v234, v10, v6, v234                              // 000000007150: D1CB00EA 07AA0D0A
	v_fma_f32 v235, v11, v6, v235                              // 000000007158: D1CB00EB 07AE0D0B
	v_fma_f32 v244, v12, v6, v244                              // 000000007160: D1CB00F4 07D20D0C
	v_fma_f32 v245, v13, v6, v245                              // 000000007168: D1CB00F5 07D60D0D
	v_fma_f32 v246, v14, v6, v246                              // 000000007170: D1CB00F6 07DA0D0E
	v_fma_f32 v247, v15, v6, v247                              // 000000007178: D1CB00F7 07DE0D0F
	s_addk_i32 s80, 0x80                                       // 000000007180: B7500080
	s_cmp_lt_i32 s80, s81                                      // 000000007184: BF045150
	s_cbranch_scc0 label_195A                                  // 000000007188: BF840777
	s_waitcnt vmcnt(26) lgkmcnt(0)                             // 00000000718C: BF8C407A
	v_mul_f32_dpp v4, v25, v36 row_newbcast:0 row_mask:0xf bank_mask:0xf// 000000007190: 0A0848FA FF015019
	v_mfma_f32_16x16x32_fp8_fp8 v[8:11], a[176:177], a[0:1], 0 // 000000007198: D3F30008 1A0201B0
	buffer_load_dword v26, v22, s[32:35], 0 offen              // 0000000071A0: E0501000 80081A16
	v_mfma_f32_16x16x32_fp8_fp8 v[8:11], a[178:179], a[2:3], v[8:11]// 0000000071A8: D3F30008 1C2205B2
	buffer_load_dwordx4 a[112:115], v48, s[24:27], 0 offen     // 0000000071B0: E05C1000 80867030
	v_mfma_f32_16x16x32_fp8_fp8 v[8:11], a[180:181], a[4:5], v[8:11]// 0000000071B8: D3F30008 1C2209B4
	v_mfma_f32_16x16x32_fp8_fp8 v[8:11], a[182:183], a[6:7], v[8:11]// 0000000071C0: D3F30008 1C220DB6
	v_mfma_f32_16x16x32_fp8_fp8 v[12:15], a[184:185], a[0:1], 0// 0000000071C8: D3F3000C 1A0201B8
	v_mfma_f32_16x16x32_fp8_fp8 v[12:15], a[186:187], a[2:3], v[12:15]// 0000000071D0: D3F3000C 1C3205BA
	buffer_load_dwordx4 a[116:119], v48, s[24:27], 0 offen offset:1024// 0000000071D8: E05C1400 80867430
	v_mfma_f32_16x16x32_fp8_fp8 v[12:15], a[188:189], a[4:5], v[12:15]// 0000000071E0: D3F3000C 1C3209BC
	v_mfma_f32_16x16x32_fp8_fp8 v[12:15], a[190:191], a[6:7], v[12:15]// 0000000071E8: D3F3000C 1C320DBE
	v_fma_f32 v56, v8, v4, v56                                 // 0000000071F0: D1CB0038 04E20908
	v_fma_f32 v57, v9, v4, v57                                 // 0000000071F8: D1CB0039 04E60909
	v_fma_f32 v58, v10, v4, v58                                // 000000007200: D1CB003A 04EA090A
	v_fma_f32 v59, v11, v4, v59                                // 000000007208: D1CB003B 04EE090B
	v_mul_f32_dpp v6, v25, v36 row_newbcast:1 row_mask:0xf bank_mask:0xf// 000000007210: 0A0C48FA FF015119
	v_mfma_f32_16x16x32_fp8_fp8 v[8:11], a[192:193], a[0:1], 0 // 000000007218: D3F30008 1A0201C0
	v_mfma_f32_16x16x32_fp8_fp8 v[8:11], a[194:195], a[2:3], v[8:11]// 000000007220: D3F30008 1C2205C2
	buffer_load_dwordx4 a[120:123], v49, s[24:27], 0 offen     // 000000007228: E05C1000 80867831
	v_mfma_f32_16x16x32_fp8_fp8 v[8:11], a[196:197], a[4:5], v[8:11]// 000000007230: D3F30008 1C2209C4
	v_mfma_f32_16x16x32_fp8_fp8 v[8:11], a[198:199], a[6:7], v[8:11]// 000000007238: D3F30008 1C220DC6
	v_fma_f32 v68, v12, v4, v68                                // 000000007240: D1CB0044 0512090C
	v_fma_f32 v69, v13, v4, v69                                // 000000007248: D1CB0045 0516090D
	v_fma_f32 v70, v14, v4, v70                                // 000000007250: D1CB0046 051A090E
	v_fma_f32 v71, v15, v4, v71                                // 000000007258: D1CB0047 051E090F
	v_mfma_f32_16x16x32_fp8_fp8 v[12:15], a[200:201], a[0:1], 0// 000000007260: D3F3000C 1A0201C8
	v_mfma_f32_16x16x32_fp8_fp8 v[12:15], a[202:203], a[2:3], v[12:15]// 000000007268: D3F3000C 1C3205CA
	buffer_load_dwordx4 a[124:127], v49, s[24:27], 0 offen offset:1024// 000000007270: E05C1400 80867C31
	v_mfma_f32_16x16x32_fp8_fp8 v[12:15], a[204:205], a[4:5], v[12:15]// 000000007278: D3F3000C 1C3209CC
	v_mfma_f32_16x16x32_fp8_fp8 v[12:15], a[206:207], a[6:7], v[12:15]// 000000007280: D3F3000C 1C320DCE
	v_fma_f32 v80, v8, v6, v80                                 // 000000007288: D1CB0050 05420D08
	v_fma_f32 v81, v9, v6, v81                                 // 000000007290: D1CB0051 05460D09
	v_fma_f32 v82, v10, v6, v82                                // 000000007298: D1CB0052 054A0D0A
	v_fma_f32 v83, v11, v6, v83                                // 0000000072A0: D1CB0053 054E0D0B
	v_mul_f32_dpp v4, v25, v36 row_newbcast:2 row_mask:0xf bank_mask:0xf// 0000000072A8: 0A0848FA FF015219
	v_mfma_f32_16x16x32_fp8_fp8 v[8:11], a[208:209], a[0:1], 0 // 0000000072B0: D3F30008 1A0201D0
	v_mfma_f32_16x16x32_fp8_fp8 v[8:11], a[210:211], a[2:3], v[8:11]// 0000000072B8: D3F30008 1C2205D2
	buffer_load_dwordx4 a[128:131], v50, s[24:27], 0 offen     // 0000000072C0: E05C1000 80868032
	v_mfma_f32_16x16x32_fp8_fp8 v[8:11], a[212:213], a[4:5], v[8:11]// 0000000072C8: D3F30008 1C2209D4
	v_mfma_f32_16x16x32_fp8_fp8 v[8:11], a[214:215], a[6:7], v[8:11]// 0000000072D0: D3F30008 1C220DD6
	v_fma_f32 v92, v12, v6, v92                                // 0000000072D8: D1CB005C 05720D0C
	v_fma_f32 v93, v13, v6, v93                                // 0000000072E0: D1CB005D 05760D0D
	v_fma_f32 v94, v14, v6, v94                                // 0000000072E8: D1CB005E 057A0D0E
	v_fma_f32 v95, v15, v6, v95                                // 0000000072F0: D1CB005F 057E0D0F
	v_mfma_f32_16x16x32_fp8_fp8 v[12:15], a[216:217], a[0:1], 0// 0000000072F8: D3F3000C 1A0201D8
	v_mfma_f32_16x16x32_fp8_fp8 v[12:15], a[218:219], a[2:3], v[12:15]// 000000007300: D3F3000C 1C3205DA
	buffer_load_dwordx4 a[132:135], v50, s[24:27], 0 offen offset:1024// 000000007308: E05C1400 80868432
	v_mfma_f32_16x16x32_fp8_fp8 v[12:15], a[220:221], a[4:5], v[12:15]// 000000007310: D3F3000C 1C3209DC
	v_mfma_f32_16x16x32_fp8_fp8 v[12:15], a[222:223], a[6:7], v[12:15]// 000000007318: D3F3000C 1C320DDE
	v_fma_f32 v104, v8, v4, v104                               // 000000007320: D1CB0068 05A20908
	v_fma_f32 v105, v9, v4, v105                               // 000000007328: D1CB0069 05A60909
	v_fma_f32 v106, v10, v4, v106                              // 000000007330: D1CB006A 05AA090A
	v_fma_f32 v107, v11, v4, v107                              // 000000007338: D1CB006B 05AE090B
	v_mul_f32_dpp v6, v25, v36 row_newbcast:3 row_mask:0xf bank_mask:0xf// 000000007340: 0A0C48FA FF015319
	v_mfma_f32_16x16x32_fp8_fp8 v[8:11], a[224:225], a[0:1], 0 // 000000007348: D3F30008 1A0201E0
	v_mfma_f32_16x16x32_fp8_fp8 v[8:11], a[226:227], a[2:3], v[8:11]// 000000007350: D3F30008 1C2205E2
	buffer_load_dwordx4 a[136:139], v51, s[24:27], 0 offen     // 000000007358: E05C1000 80868833
	v_mfma_f32_16x16x32_fp8_fp8 v[8:11], a[228:229], a[4:5], v[8:11]// 000000007360: D3F30008 1C2209E4
	v_mfma_f32_16x16x32_fp8_fp8 v[8:11], a[230:231], a[6:7], v[8:11]// 000000007368: D3F30008 1C220DE6
	v_fma_f32 v116, v12, v4, v116                              // 000000007370: D1CB0074 05D2090C
	v_fma_f32 v117, v13, v4, v117                              // 000000007378: D1CB0075 05D6090D
	v_fma_f32 v118, v14, v4, v118                              // 000000007380: D1CB0076 05DA090E
	v_fma_f32 v119, v15, v4, v119                              // 000000007388: D1CB0077 05DE090F
	v_mfma_f32_16x16x32_fp8_fp8 v[12:15], a[232:233], a[0:1], 0// 000000007390: D3F3000C 1A0201E8
	v_mfma_f32_16x16x32_fp8_fp8 v[12:15], a[234:235], a[2:3], v[12:15]// 000000007398: D3F3000C 1C3205EA
	buffer_load_dwordx4 a[140:143], v51, s[24:27], 0 offen offset:1024// 0000000073A0: E05C1400 80868C33
	v_mfma_f32_16x16x32_fp8_fp8 v[12:15], a[236:237], a[4:5], v[12:15]// 0000000073A8: D3F3000C 1C3209EC
	v_mfma_f32_16x16x32_fp8_fp8 v[12:15], a[238:239], a[6:7], v[12:15]// 0000000073B0: D3F3000C 1C320DEE
	v_fma_f32 v128, v8, v6, v128                               // 0000000073B8: D1CB0080 06020D08
	v_fma_f32 v129, v9, v6, v129                               // 0000000073C0: D1CB0081 06060D09
	v_fma_f32 v130, v10, v6, v130                              // 0000000073C8: D1CB0082 060A0D0A
	v_fma_f32 v131, v11, v6, v131                              // 0000000073D0: D1CB0083 060E0D0B
	v_mul_f32_dpp v4, v25, v37 row_newbcast:0 row_mask:0xf bank_mask:0xf// 0000000073D8: 0A084AFA FF015019
	v_mfma_f32_16x16x32_fp8_fp8 v[8:11], a[176:177], a[8:9], 0 // 0000000073E0: D3F30008 1A0211B0
	v_mfma_f32_16x16x32_fp8_fp8 v[8:11], a[178:179], a[10:11], v[8:11]// 0000000073E8: D3F30008 1C2215B2
	buffer_load_dwordx4 a[144:147], v52, s[24:27], 0 offen     // 0000000073F0: E05C1000 80869034
	v_mfma_f32_16x16x32_fp8_fp8 v[8:11], a[180:181], a[12:13], v[8:11]// 0000000073F8: D3F30008 1C2219B4
	v_mfma_f32_16x16x32_fp8_fp8 v[8:11], a[182:183], a[14:15], v[8:11]// 000000007400: D3F30008 1C221DB6
	v_fma_f32 v140, v12, v6, v140                              // 000000007408: D1CB008C 06320D0C
	v_fma_f32 v141, v13, v6, v141                              // 000000007410: D1CB008D 06360D0D
	v_fma_f32 v142, v14, v6, v142                              // 000000007418: D1CB008E 063A0D0E
	v_fma_f32 v143, v15, v6, v143                              // 000000007420: D1CB008F 063E0D0F
	v_mfma_f32_16x16x32_fp8_fp8 v[12:15], a[184:185], a[8:9], 0// 000000007428: D3F3000C 1A0211B8
	v_mfma_f32_16x16x32_fp8_fp8 v[12:15], a[186:187], a[10:11], v[12:15]// 000000007430: D3F3000C 1C3215BA
	buffer_load_dwordx4 a[148:151], v52, s[24:27], 0 offen offset:1024// 000000007438: E05C1400 80869434
	v_mfma_f32_16x16x32_fp8_fp8 v[12:15], a[188:189], a[12:13], v[12:15]// 000000007440: D3F3000C 1C3219BC
	v_mfma_f32_16x16x32_fp8_fp8 v[12:15], a[190:191], a[14:15], v[12:15]// 000000007448: D3F3000C 1C321DBE
	v_fma_f32 v60, v8, v4, v60                                 // 000000007450: D1CB003C 04F20908
	v_fma_f32 v61, v9, v4, v61                                 // 000000007458: D1CB003D 04F60909
	v_fma_f32 v62, v10, v4, v62                                // 000000007460: D1CB003E 04FA090A
	v_fma_f32 v63, v11, v4, v63                                // 000000007468: D1CB003F 04FE090B
	v_mul_f32_dpp v6, v25, v37 row_newbcast:1 row_mask:0xf bank_mask:0xf// 000000007470: 0A0C4AFA FF015119
	v_mfma_f32_16x16x32_fp8_fp8 v[8:11], a[192:193], a[8:9], 0 // 000000007478: D3F30008 1A0211C0
	v_mfma_f32_16x16x32_fp8_fp8 v[8:11], a[194:195], a[10:11], v[8:11]// 000000007480: D3F30008 1C2215C2
	buffer_load_dwordx4 a[152:155], v53, s[24:27], 0 offen     // 000000007488: E05C1000 80869835
	v_mfma_f32_16x16x32_fp8_fp8 v[8:11], a[196:197], a[12:13], v[8:11]// 000000007490: D3F30008 1C2219C4
	v_mfma_f32_16x16x32_fp8_fp8 v[8:11], a[198:199], a[14:15], v[8:11]// 000000007498: D3F30008 1C221DC6
	v_fma_f32 v72, v12, v4, v72                                // 0000000074A0: D1CB0048 0522090C
	v_fma_f32 v73, v13, v4, v73                                // 0000000074A8: D1CB0049 0526090D
	v_fma_f32 v74, v14, v4, v74                                // 0000000074B0: D1CB004A 052A090E
	v_fma_f32 v75, v15, v4, v75                                // 0000000074B8: D1CB004B 052E090F
	v_mfma_f32_16x16x32_fp8_fp8 v[12:15], a[200:201], a[8:9], 0// 0000000074C0: D3F3000C 1A0211C8
	v_mfma_f32_16x16x32_fp8_fp8 v[12:15], a[202:203], a[10:11], v[12:15]// 0000000074C8: D3F3000C 1C3215CA
	buffer_load_dwordx4 a[156:159], v53, s[24:27], 0 offen offset:1024// 0000000074D0: E05C1400 80869C35
	v_mfma_f32_16x16x32_fp8_fp8 v[12:15], a[204:205], a[12:13], v[12:15]// 0000000074D8: D3F3000C 1C3219CC
	v_mfma_f32_16x16x32_fp8_fp8 v[12:15], a[206:207], a[14:15], v[12:15]// 0000000074E0: D3F3000C 1C321DCE
	v_fma_f32 v84, v8, v6, v84                                 // 0000000074E8: D1CB0054 05520D08
	v_fma_f32 v85, v9, v6, v85                                 // 0000000074F0: D1CB0055 05560D09
	v_fma_f32 v86, v10, v6, v86                                // 0000000074F8: D1CB0056 055A0D0A
	v_fma_f32 v87, v11, v6, v87                                // 000000007500: D1CB0057 055E0D0B
	v_mul_f32_dpp v4, v25, v37 row_newbcast:2 row_mask:0xf bank_mask:0xf// 000000007508: 0A084AFA FF015219
	v_mfma_f32_16x16x32_fp8_fp8 v[8:11], a[208:209], a[8:9], 0 // 000000007510: D3F30008 1A0211D0
	v_mfma_f32_16x16x32_fp8_fp8 v[8:11], a[210:211], a[10:11], v[8:11]// 000000007518: D3F30008 1C2215D2
	buffer_load_dwordx4 a[160:163], v54, s[24:27], 0 offen     // 000000007520: E05C1000 8086A036
	v_mfma_f32_16x16x32_fp8_fp8 v[8:11], a[212:213], a[12:13], v[8:11]// 000000007528: D3F30008 1C2219D4
	v_mfma_f32_16x16x32_fp8_fp8 v[8:11], a[214:215], a[14:15], v[8:11]// 000000007530: D3F30008 1C221DD6
	v_fma_f32 v96, v12, v6, v96                                // 000000007538: D1CB0060 05820D0C
	v_fma_f32 v97, v13, v6, v97                                // 000000007540: D1CB0061 05860D0D
	v_fma_f32 v98, v14, v6, v98                                // 000000007548: D1CB0062 058A0D0E
	v_fma_f32 v99, v15, v6, v99                                // 000000007550: D1CB0063 058E0D0F
	v_mfma_f32_16x16x32_fp8_fp8 v[12:15], a[216:217], a[8:9], 0// 000000007558: D3F3000C 1A0211D8
	v_mfma_f32_16x16x32_fp8_fp8 v[12:15], a[218:219], a[10:11], v[12:15]// 000000007560: D3F3000C 1C3215DA
	buffer_load_dwordx4 a[164:167], v54, s[24:27], 0 offen offset:1024// 000000007568: E05C1400 8086A436
	v_mfma_f32_16x16x32_fp8_fp8 v[12:15], a[220:221], a[12:13], v[12:15]// 000000007570: D3F3000C 1C3219DC
	v_mfma_f32_16x16x32_fp8_fp8 v[12:15], a[222:223], a[14:15], v[12:15]// 000000007578: D3F3000C 1C321DDE
	v_fma_f32 v108, v8, v4, v108                               // 000000007580: D1CB006C 05B20908
	v_fma_f32 v109, v9, v4, v109                               // 000000007588: D1CB006D 05B60909
	v_fma_f32 v110, v10, v4, v110                              // 000000007590: D1CB006E 05BA090A
	v_fma_f32 v111, v11, v4, v111                              // 000000007598: D1CB006F 05BE090B
	v_mul_f32_dpp v6, v25, v37 row_newbcast:3 row_mask:0xf bank_mask:0xf// 0000000075A0: 0A0C4AFA FF015319
	v_mfma_f32_16x16x32_fp8_fp8 v[8:11], a[224:225], a[8:9], 0 // 0000000075A8: D3F30008 1A0211E0
	v_mfma_f32_16x16x32_fp8_fp8 v[8:11], a[226:227], a[10:11], v[8:11]// 0000000075B0: D3F30008 1C2215E2
	buffer_load_dwordx4 a[168:171], v55, s[24:27], 0 offen     // 0000000075B8: E05C1000 8086A837
	v_mfma_f32_16x16x32_fp8_fp8 v[8:11], a[228:229], a[12:13], v[8:11]// 0000000075C0: D3F30008 1C2219E4
	v_mfma_f32_16x16x32_fp8_fp8 v[8:11], a[230:231], a[14:15], v[8:11]// 0000000075C8: D3F30008 1C221DE6
	v_fma_f32 v120, v12, v4, v120                              // 0000000075D0: D1CB0078 05E2090C
	v_fma_f32 v121, v13, v4, v121                              // 0000000075D8: D1CB0079 05E6090D
	v_fma_f32 v122, v14, v4, v122                              // 0000000075E0: D1CB007A 05EA090E
	v_fma_f32 v123, v15, v4, v123                              // 0000000075E8: D1CB007B 05EE090F
	v_mfma_f32_16x16x32_fp8_fp8 v[12:15], a[232:233], a[8:9], 0// 0000000075F0: D3F3000C 1A0211E8
	v_mfma_f32_16x16x32_fp8_fp8 v[12:15], a[234:235], a[10:11], v[12:15]// 0000000075F8: D3F3000C 1C3215EA
	buffer_load_dwordx4 a[172:175], v55, s[24:27], 0 offen offset:1024// 000000007600: E05C1400 8086AC37
	buffer_load_dword v42, s[20:23], 0 offen lds               // 000000007608: E0511000 8005002A
	s_add_u32 m0, 0x100, s48                                   // 000000007610: 807C30FF 00000100
	v_mfma_f32_16x16x32_fp8_fp8 v[12:15], a[236:237], a[12:13], v[12:15]// 000000007618: D3F3000C 1C3219EC
	v_mfma_f32_16x16x32_fp8_fp8 v[12:15], a[238:239], a[14:15], v[12:15]// 000000007620: D3F3000C 1C321DEE
	buffer_load_dword v43, s[20:23], 0 offen lds               // 000000007628: E0511000 8005002B
	s_add_u32 m0, 0x200, s48                                   // 000000007630: 807C30FF 00000200
	v_fma_f32 v132, v8, v6, v132                               // 000000007638: D1CB0084 06120D08
	v_fma_f32 v133, v9, v6, v133                               // 000000007640: D1CB0085 06160D09
	v_fma_f32 v134, v10, v6, v134                              // 000000007648: D1CB0086 061A0D0A
	v_fma_f32 v135, v11, v6, v135                              // 000000007650: D1CB0087 061E0D0B
	v_mul_f32_dpp v4, v25, v38 row_newbcast:0 row_mask:0xf bank_mask:0xf// 000000007658: 0A084CFA FF015019
	v_mfma_f32_16x16x32_fp8_fp8 v[8:11], a[176:177], a[16:17], 0// 000000007660: D3F30008 1A0221B0
	v_mfma_f32_16x16x32_fp8_fp8 v[8:11], a[178:179], a[18:19], v[8:11]// 000000007668: D3F30008 1C2225B2
	buffer_load_dword v44, s[20:23], 0 offen lds               // 000000007670: E0511000 8005002C
	s_add_u32 m0, 0x300, s48                                   // 000000007678: 807C30FF 00000300
	v_mfma_f32_16x16x32_fp8_fp8 v[8:11], a[180:181], a[20:21], v[8:11]// 000000007680: D3F30008 1C2229B4
	v_mfma_f32_16x16x32_fp8_fp8 v[8:11], a[182:183], a[22:23], v[8:11]// 000000007688: D3F30008 1C222DB6
	buffer_load_dword v45, s[20:23], 0 offen lds               // 000000007690: E0511000 8005002D
	s_add_u32 m0, 0x400, s48                                   // 000000007698: 807C30FF 00000400
	v_fma_f32 v144, v12, v6, v144                              // 0000000076A0: D1CB0090 06420D0C
	v_fma_f32 v145, v13, v6, v145                              // 0000000076A8: D1CB0091 06460D0D
	v_fma_f32 v146, v14, v6, v146                              // 0000000076B0: D1CB0092 064A0D0E
	v_fma_f32 v147, v15, v6, v147                              // 0000000076B8: D1CB0093 064E0D0F
	v_mfma_f32_16x16x32_fp8_fp8 v[12:15], a[184:185], a[16:17], 0// 0000000076C0: D3F3000C 1A0221B8
	v_mfma_f32_16x16x32_fp8_fp8 v[12:15], a[186:187], a[18:19], v[12:15]// 0000000076C8: D3F3000C 1C3225BA
	buffer_load_dword v46, s[20:23], 0 offen lds               // 0000000076D0: E0511000 8005002E
	s_add_u32 m0, 0x500, s48                                   // 0000000076D8: 807C30FF 00000500
	v_mfma_f32_16x16x32_fp8_fp8 v[12:15], a[188:189], a[20:21], v[12:15]// 0000000076E0: D3F3000C 1C3229BC
	v_mfma_f32_16x16x32_fp8_fp8 v[12:15], a[190:191], a[22:23], v[12:15]// 0000000076E8: D3F3000C 1C322DBE
	buffer_load_dword v47, s[20:23], 0 offen lds               // 0000000076F0: E0511000 8005002F
	s_add_u32 m0, 0, s49                                       // 0000000076F8: 807C3180
	v_fma_f32 v64, v8, v4, v64                                 // 0000000076FC: D1CB0040 05020908
	v_fma_f32 v65, v9, v4, v65                                 // 000000007704: D1CB0041 05060909
	v_fma_f32 v66, v10, v4, v66                                // 00000000770C: D1CB0042 050A090A
	v_fma_f32 v67, v11, v4, v67                                // 000000007714: D1CB0043 050E090B
	v_mul_f32_dpp v6, v25, v38 row_newbcast:1 row_mask:0xf bank_mask:0xf// 00000000771C: 0A0C4CFA FF015119
	v_mfma_f32_16x16x32_fp8_fp8 v[8:11], a[192:193], a[16:17], 0// 000000007724: D3F30008 1A0221C0
	v_mfma_f32_16x16x32_fp8_fp8 v[8:11], a[194:195], a[18:19], v[8:11]// 00000000772C: D3F30008 1C2225C2
	buffer_load_dword v33, v30, s[28:31], 0 offen              // 000000007734: E0501000 8007211E
	v_mfma_f32_16x16x32_fp8_fp8 v[8:11], a[196:197], a[20:21], v[8:11]// 00000000773C: D3F30008 1C2229C4
	v_mfma_f32_16x16x32_fp8_fp8 v[8:11], a[198:199], a[22:23], v[8:11]// 000000007744: D3F30008 1C222DC6
	buffer_load_dword v34, v31, s[28:31], 0 offen              // 00000000774C: E0501000 8007221F
	v_fma_f32 v76, v12, v4, v76                                // 000000007754: D1CB004C 0532090C
	v_fma_f32 v77, v13, v4, v77                                // 00000000775C: D1CB004D 0536090D
	v_fma_f32 v78, v14, v4, v78                                // 000000007764: D1CB004E 053A090E
	v_fma_f32 v79, v15, v4, v79                                // 00000000776C: D1CB004F 053E090F
	v_mfma_f32_16x16x32_fp8_fp8 v[12:15], a[200:201], a[16:17], 0// 000000007774: D3F3000C 1A0221C8
	v_mfma_f32_16x16x32_fp8_fp8 v[12:15], a[202:203], a[18:19], v[12:15]// 00000000777C: D3F3000C 1C3225CA
	buffer_load_dword v35, v32, s[28:31], 0 offen              // 000000007784: E0501000 80072320
	v_mfma_f32_16x16x32_fp8_fp8 v[12:15], a[204:205], a[20:21], v[12:15]// 00000000778C: D3F3000C 1C3229CC
	v_mfma_f32_16x16x32_fp8_fp8 v[12:15], a[206:207], a[22:23], v[12:15]// 000000007794: D3F3000C 1C322DCE
	v_fma_f32 v88, v8, v6, v88                                 // 00000000779C: D1CB0058 05620D08
	v_fma_f32 v89, v9, v6, v89                                 // 0000000077A4: D1CB0059 05660D09
	v_fma_f32 v90, v10, v6, v90                                // 0000000077AC: D1CB005A 056A0D0A
	v_fma_f32 v91, v11, v6, v91                                // 0000000077B4: D1CB005B 056E0D0B
	v_mul_f32_dpp v4, v25, v38 row_newbcast:2 row_mask:0xf bank_mask:0xf// 0000000077BC: 0A084CFA FF015219
	v_mfma_f32_16x16x32_fp8_fp8 v[8:11], a[208:209], a[16:17], 0// 0000000077C4: D3F30008 1A0221D0
	v_mfma_f32_16x16x32_fp8_fp8 v[8:11], a[210:211], a[18:19], v[8:11]// 0000000077CC: D3F30008 1C2225D2
	v_mfma_f32_16x16x32_fp8_fp8 v[8:11], a[212:213], a[20:21], v[8:11]// 0000000077D4: D3F30008 1C2229D4
	v_mfma_f32_16x16x32_fp8_fp8 v[8:11], a[214:215], a[22:23], v[8:11]// 0000000077DC: D3F30008 1C222DD6
	v_fma_f32 v100, v12, v6, v100                              // 0000000077E4: D1CB0064 05920D0C
	v_fma_f32 v101, v13, v6, v101                              // 0000000077EC: D1CB0065 05960D0D
	v_fma_f32 v102, v14, v6, v102                              // 0000000077F4: D1CB0066 059A0D0E
	v_fma_f32 v103, v15, v6, v103                              // 0000000077FC: D1CB0067 059E0D0F
	v_mfma_f32_16x16x32_fp8_fp8 v[12:15], a[216:217], a[16:17], 0// 000000007804: D3F3000C 1A0221D8
	v_mfma_f32_16x16x32_fp8_fp8 v[12:15], a[218:219], a[18:19], v[12:15]// 00000000780C: D3F3000C 1C3225DA
	v_mfma_f32_16x16x32_fp8_fp8 v[12:15], a[220:221], a[20:21], v[12:15]// 000000007814: D3F3000C 1C3229DC
	v_mfma_f32_16x16x32_fp8_fp8 v[12:15], a[222:223], a[22:23], v[12:15]// 00000000781C: D3F3000C 1C322DDE
	v_fma_f32 v112, v8, v4, v112                               // 000000007824: D1CB0070 05C20908
	v_fma_f32 v113, v9, v4, v113                               // 00000000782C: D1CB0071 05C60909
	v_fma_f32 v114, v10, v4, v114                              // 000000007834: D1CB0072 05CA090A
	v_fma_f32 v115, v11, v4, v115                              // 00000000783C: D1CB0073 05CE090B
	v_mul_f32_dpp v6, v25, v38 row_newbcast:3 row_mask:0xf bank_mask:0xf// 000000007844: 0A0C4CFA FF015319
	v_mfma_f32_16x16x32_fp8_fp8 v[8:11], a[224:225], a[16:17], 0// 00000000784C: D3F30008 1A0221E0
	v_mfma_f32_16x16x32_fp8_fp8 v[8:11], a[226:227], a[18:19], v[8:11]// 000000007854: D3F30008 1C2225E2
	v_mfma_f32_16x16x32_fp8_fp8 v[8:11], a[228:229], a[20:21], v[8:11]// 00000000785C: D3F30008 1C2229E4
	v_mfma_f32_16x16x32_fp8_fp8 v[8:11], a[230:231], a[22:23], v[8:11]// 000000007864: D3F30008 1C222DE6
	v_fma_f32 v124, v12, v4, v124                              // 00000000786C: D1CB007C 05F2090C
	v_fma_f32 v125, v13, v4, v125                              // 000000007874: D1CB007D 05F6090D
	v_fma_f32 v126, v14, v4, v126                              // 00000000787C: D1CB007E 05FA090E
	v_fma_f32 v127, v15, v4, v127                              // 000000007884: D1CB007F 05FE090F
	v_mfma_f32_16x16x32_fp8_fp8 v[12:15], a[232:233], a[16:17], 0// 00000000788C: D3F3000C 1A0221E8
	v_mfma_f32_16x16x32_fp8_fp8 v[12:15], a[234:235], a[18:19], v[12:15]// 000000007894: D3F3000C 1C3225EA
	v_mfma_f32_16x16x32_fp8_fp8 v[12:15], a[236:237], a[20:21], v[12:15]// 00000000789C: D3F3000C 1C3229EC
	v_mfma_f32_16x16x32_fp8_fp8 v[12:15], a[238:239], a[22:23], v[12:15]// 0000000078A4: D3F3000C 1C322DEE
	v_fma_f32 v136, v8, v6, v136                               // 0000000078AC: D1CB0088 06220D08
	v_fma_f32 v137, v9, v6, v137                               // 0000000078B4: D1CB0089 06260D09
	v_fma_f32 v138, v10, v6, v138                              // 0000000078BC: D1CB008A 062A0D0A
	v_fma_f32 v139, v11, v6, v139                              // 0000000078C4: D1CB008B 062E0D0B
	v_fma_f32 v148, v12, v6, v148                              // 0000000078CC: D1CB0094 06520D0C
	v_fma_f32 v149, v13, v6, v149                              // 0000000078D4: D1CB0095 06560D0D
	v_fma_f32 v150, v14, v6, v150                              // 0000000078DC: D1CB0096 065A0D0E
	v_fma_f32 v151, v15, v6, v151                              // 0000000078E4: D1CB0097 065E0D0F
	s_waitcnt vmcnt(26)                                        // 0000000078EC: BF8C4F7A
	s_barrier                                                  // 0000000078F0: BF8A0000
	v_mul_f32_dpp v4, v28, v36 row_newbcast:0 row_mask:0xf bank_mask:0xf// 0000000078F4: 0A0848FA FF01501C
	v_mfma_f32_16x16x32_fp8_fp8 v[8:11], a[48:49], a[0:1], 0   // 0000000078FC: D3F30008 1A020130
	buffer_load_dword v29, v23, s[32:35], 0 offen              // 000000007904: E0501000 80081D17
	v_mfma_f32_16x16x32_fp8_fp8 v[8:11], a[50:51], a[2:3], v[8:11]// 00000000790C: D3F30008 1C220532
	buffer_load_dwordx4 a[176:179], v48, s[84:87], 0 offen     // 000000007914: E05C1000 8095B030
	v_mfma_f32_16x16x32_fp8_fp8 v[8:11], a[52:53], a[4:5], v[8:11]// 00000000791C: D3F30008 1C220934
	v_mfma_f32_16x16x32_fp8_fp8 v[8:11], a[54:55], a[6:7], v[8:11]// 000000007924: D3F30008 1C220D36
	ds_read_b128 a[24:27], v2 offset:12544                     // 00000000792C: DBFE3100 18000002
	ds_read_b128 a[28:31], v2 offset:12608                     // 000000007934: DBFE3140 1C000002
	v_mfma_f32_16x16x32_fp8_fp8 v[12:15], a[56:57], a[0:1], 0  // 00000000793C: D3F3000C 1A020138
	v_mfma_f32_16x16x32_fp8_fp8 v[12:15], a[58:59], a[2:3], v[12:15]// 000000007944: D3F3000C 1C32053A
	buffer_load_dwordx4 a[180:183], v48, s[84:87], 0 offen offset:1024// 00000000794C: E05C1400 8095B430
	v_mfma_f32_16x16x32_fp8_fp8 v[12:15], a[60:61], a[4:5], v[12:15]// 000000007954: D3F3000C 1C32093C
	v_mfma_f32_16x16x32_fp8_fp8 v[12:15], a[62:63], a[6:7], v[12:15]// 00000000795C: D3F3000C 1C320D3E
	ds_read_b128 a[32:35], v2 offset:13056                     // 000000007964: DBFE3300 20000002
	ds_read_b128 a[36:39], v2 offset:13120                     // 00000000796C: DBFE3340 24000002
	v_fma_f32 v152, v8, v4, v152                               // 000000007974: D1CB0098 06620908
	v_fma_f32 v153, v9, v4, v153                               // 00000000797C: D1CB0099 06660909
	v_fma_f32 v154, v10, v4, v154                              // 000000007984: D1CB009A 066A090A
	v_fma_f32 v155, v11, v4, v155                              // 00000000798C: D1CB009B 066E090B
	v_mul_f32_dpp v6, v28, v36 row_newbcast:1 row_mask:0xf bank_mask:0xf// 000000007994: 0A0C48FA FF01511C
	v_mfma_f32_16x16x32_fp8_fp8 v[8:11], a[64:65], a[0:1], 0   // 00000000799C: D3F30008 1A020140
	v_mfma_f32_16x16x32_fp8_fp8 v[8:11], a[66:67], a[2:3], v[8:11]// 0000000079A4: D3F30008 1C220542
	buffer_load_dwordx4 a[184:187], v49, s[84:87], 0 offen     // 0000000079AC: E05C1000 8095B831
	v_mfma_f32_16x16x32_fp8_fp8 v[8:11], a[68:69], a[4:5], v[8:11]// 0000000079B4: D3F30008 1C220944
	v_mfma_f32_16x16x32_fp8_fp8 v[8:11], a[70:71], a[6:7], v[8:11]// 0000000079BC: D3F30008 1C220D46
	ds_read_b128 a[40:43], v2 offset:13568                     // 0000000079C4: DBFE3500 28000002
	ds_read_b128 a[44:47], v2 offset:13632                     // 0000000079CC: DBFE3540 2C000002
	v_fma_f32 v164, v12, v4, v164                              // 0000000079D4: D1CB00A4 0692090C
	v_fma_f32 v165, v13, v4, v165                              // 0000000079DC: D1CB00A5 0696090D
	v_fma_f32 v166, v14, v4, v166                              // 0000000079E4: D1CB00A6 069A090E
	v_fma_f32 v167, v15, v4, v167                              // 0000000079EC: D1CB00A7 069E090F
	v_mfma_f32_16x16x32_fp8_fp8 v[12:15], a[72:73], a[0:1], 0  // 0000000079F4: D3F3000C 1A020148
	v_mfma_f32_16x16x32_fp8_fp8 v[12:15], a[74:75], a[2:3], v[12:15]// 0000000079FC: D3F3000C 1C32054A
	buffer_load_dwordx4 a[188:191], v49, s[84:87], 0 offen offset:1024// 000000007A04: E05C1400 8095BC31
	v_mfma_f32_16x16x32_fp8_fp8 v[12:15], a[76:77], a[4:5], v[12:15]// 000000007A0C: D3F3000C 1C32094C
	v_mfma_f32_16x16x32_fp8_fp8 v[12:15], a[78:79], a[6:7], v[12:15]// 000000007A14: D3F3000C 1C320D4E
	v_fma_f32 v176, v8, v6, v176                               // 000000007A1C: D1CB00B0 06C20D08
	v_fma_f32 v177, v9, v6, v177                               // 000000007A24: D1CB00B1 06C60D09
	v_fma_f32 v178, v10, v6, v178                              // 000000007A2C: D1CB00B2 06CA0D0A
	v_fma_f32 v179, v11, v6, v179                              // 000000007A34: D1CB00B3 06CE0D0B
	v_mul_f32_dpp v4, v28, v36 row_newbcast:2 row_mask:0xf bank_mask:0xf// 000000007A3C: 0A0848FA FF01521C
	v_mfma_f32_16x16x32_fp8_fp8 v[8:11], a[80:81], a[0:1], 0   // 000000007A44: D3F30008 1A020150
	v_mfma_f32_16x16x32_fp8_fp8 v[8:11], a[82:83], a[2:3], v[8:11]// 000000007A4C: D3F30008 1C220552
	buffer_load_dwordx4 a[192:195], v50, s[84:87], 0 offen     // 000000007A54: E05C1000 8095C032
	v_mfma_f32_16x16x32_fp8_fp8 v[8:11], a[84:85], a[4:5], v[8:11]// 000000007A5C: D3F30008 1C220954
	v_mfma_f32_16x16x32_fp8_fp8 v[8:11], a[86:87], a[6:7], v[8:11]// 000000007A64: D3F30008 1C220D56
	v_fma_f32 v188, v12, v6, v188                              // 000000007A6C: D1CB00BC 06F20D0C
	v_fma_f32 v189, v13, v6, v189                              // 000000007A74: D1CB00BD 06F60D0D
	v_fma_f32 v190, v14, v6, v190                              // 000000007A7C: D1CB00BE 06FA0D0E
	v_fma_f32 v191, v15, v6, v191                              // 000000007A84: D1CB00BF 06FE0D0F
	v_mfma_f32_16x16x32_fp8_fp8 v[12:15], a[88:89], a[0:1], 0  // 000000007A8C: D3F3000C 1A020158
	v_mfma_f32_16x16x32_fp8_fp8 v[12:15], a[90:91], a[2:3], v[12:15]// 000000007A94: D3F3000C 1C32055A
	buffer_load_dwordx4 a[196:199], v50, s[84:87], 0 offen offset:1024// 000000007A9C: E05C1400 8095C432
	v_mfma_f32_16x16x32_fp8_fp8 v[12:15], a[92:93], a[4:5], v[12:15]// 000000007AA4: D3F3000C 1C32095C
	v_mfma_f32_16x16x32_fp8_fp8 v[12:15], a[94:95], a[6:7], v[12:15]// 000000007AAC: D3F3000C 1C320D5E
	v_fma_f32 v200, v8, v4, v200                               // 000000007AB4: D1CB00C8 07220908
	v_fma_f32 v201, v9, v4, v201                               // 000000007ABC: D1CB00C9 07260909
	v_fma_f32 v202, v10, v4, v202                              // 000000007AC4: D1CB00CA 072A090A
	v_fma_f32 v203, v11, v4, v203                              // 000000007ACC: D1CB00CB 072E090B
	v_mul_f32_dpp v6, v28, v36 row_newbcast:3 row_mask:0xf bank_mask:0xf// 000000007AD4: 0A0C48FA FF01531C
	v_mfma_f32_16x16x32_fp8_fp8 v[8:11], a[96:97], a[0:1], 0   // 000000007ADC: D3F30008 1A020160
	v_mfma_f32_16x16x32_fp8_fp8 v[8:11], a[98:99], a[2:3], v[8:11]// 000000007AE4: D3F30008 1C220562
	buffer_load_dwordx4 a[200:203], v51, s[84:87], 0 offen     // 000000007AEC: E05C1000 8095C833
	v_mfma_f32_16x16x32_fp8_fp8 v[8:11], a[100:101], a[4:5], v[8:11]// 000000007AF4: D3F30008 1C220964
	v_mfma_f32_16x16x32_fp8_fp8 v[8:11], a[102:103], a[6:7], v[8:11]// 000000007AFC: D3F30008 1C220D66
	v_fma_f32 v212, v12, v4, v212                              // 000000007B04: D1CB00D4 0752090C
	v_fma_f32 v213, v13, v4, v213                              // 000000007B0C: D1CB00D5 0756090D
	v_fma_f32 v214, v14, v4, v214                              // 000000007B14: D1CB00D6 075A090E
	v_fma_f32 v215, v15, v4, v215                              // 000000007B1C: D1CB00D7 075E090F
	v_mfma_f32_16x16x32_fp8_fp8 v[12:15], a[104:105], a[0:1], 0// 000000007B24: D3F3000C 1A020168
	v_mfma_f32_16x16x32_fp8_fp8 v[12:15], a[106:107], a[2:3], v[12:15]// 000000007B2C: D3F3000C 1C32056A
	buffer_load_dwordx4 a[204:207], v51, s[84:87], 0 offen offset:1024// 000000007B34: E05C1400 8095CC33
	v_mfma_f32_16x16x32_fp8_fp8 v[12:15], a[108:109], a[4:5], v[12:15]// 000000007B3C: D3F3000C 1C32096C
	v_mfma_f32_16x16x32_fp8_fp8 v[12:15], a[110:111], a[6:7], v[12:15]// 000000007B44: D3F3000C 1C320D6E
	v_fma_f32 v224, v8, v6, v224                               // 000000007B4C: D1CB00E0 07820D08
	v_fma_f32 v225, v9, v6, v225                               // 000000007B54: D1CB00E1 07860D09
	v_fma_f32 v226, v10, v6, v226                              // 000000007B5C: D1CB00E2 078A0D0A
	v_fma_f32 v227, v11, v6, v227                              // 000000007B64: D1CB00E3 078E0D0B
	v_mul_f32_dpp v4, v28, v37 row_newbcast:0 row_mask:0xf bank_mask:0xf// 000000007B6C: 0A084AFA FF01501C
	v_mfma_f32_16x16x32_fp8_fp8 v[8:11], a[48:49], a[8:9], 0   // 000000007B74: D3F30008 1A021130
	v_mfma_f32_16x16x32_fp8_fp8 v[8:11], a[50:51], a[10:11], v[8:11]// 000000007B7C: D3F30008 1C221532
	buffer_load_dwordx4 a[208:211], v52, s[84:87], 0 offen     // 000000007B84: E05C1000 8095D034
	v_mfma_f32_16x16x32_fp8_fp8 v[8:11], a[52:53], a[12:13], v[8:11]// 000000007B8C: D3F30008 1C221934
	v_mfma_f32_16x16x32_fp8_fp8 v[8:11], a[54:55], a[14:15], v[8:11]// 000000007B94: D3F30008 1C221D36
	v_fma_f32 v236, v12, v6, v236                              // 000000007B9C: D1CB00EC 07B20D0C
	v_fma_f32 v237, v13, v6, v237                              // 000000007BA4: D1CB00ED 07B60D0D
	v_fma_f32 v238, v14, v6, v238                              // 000000007BAC: D1CB00EE 07BA0D0E
	v_fma_f32 v239, v15, v6, v239                              // 000000007BB4: D1CB00EF 07BE0D0F
	v_mfma_f32_16x16x32_fp8_fp8 v[12:15], a[56:57], a[8:9], 0  // 000000007BBC: D3F3000C 1A021138
	v_mfma_f32_16x16x32_fp8_fp8 v[12:15], a[58:59], a[10:11], v[12:15]// 000000007BC4: D3F3000C 1C32153A
	buffer_load_dwordx4 a[212:215], v52, s[84:87], 0 offen offset:1024// 000000007BCC: E05C1400 8095D434
	v_mfma_f32_16x16x32_fp8_fp8 v[12:15], a[60:61], a[12:13], v[12:15]// 000000007BD4: D3F3000C 1C32193C
	v_mfma_f32_16x16x32_fp8_fp8 v[12:15], a[62:63], a[14:15], v[12:15]// 000000007BDC: D3F3000C 1C321D3E
	v_fma_f32 v156, v8, v4, v156                               // 000000007BE4: D1CB009C 06720908
	v_fma_f32 v157, v9, v4, v157                               // 000000007BEC: D1CB009D 06760909
	v_fma_f32 v158, v10, v4, v158                              // 000000007BF4: D1CB009E 067A090A
	v_fma_f32 v159, v11, v4, v159                              // 000000007BFC: D1CB009F 067E090B
	v_mul_f32_dpp v6, v28, v37 row_newbcast:1 row_mask:0xf bank_mask:0xf// 000000007C04: 0A0C4AFA FF01511C
	v_mfma_f32_16x16x32_fp8_fp8 v[8:11], a[64:65], a[8:9], 0   // 000000007C0C: D3F30008 1A021140
	v_mfma_f32_16x16x32_fp8_fp8 v[8:11], a[66:67], a[10:11], v[8:11]// 000000007C14: D3F30008 1C221542
	buffer_load_dwordx4 a[216:219], v53, s[84:87], 0 offen     // 000000007C1C: E05C1000 8095D835
	v_mfma_f32_16x16x32_fp8_fp8 v[8:11], a[68:69], a[12:13], v[8:11]// 000000007C24: D3F30008 1C221944
	v_mfma_f32_16x16x32_fp8_fp8 v[8:11], a[70:71], a[14:15], v[8:11]// 000000007C2C: D3F30008 1C221D46
	v_fma_f32 v168, v12, v4, v168                              // 000000007C34: D1CB00A8 06A2090C
	v_fma_f32 v169, v13, v4, v169                              // 000000007C3C: D1CB00A9 06A6090D
	v_fma_f32 v170, v14, v4, v170                              // 000000007C44: D1CB00AA 06AA090E
	v_fma_f32 v171, v15, v4, v171                              // 000000007C4C: D1CB00AB 06AE090F
	v_mfma_f32_16x16x32_fp8_fp8 v[12:15], a[72:73], a[8:9], 0  // 000000007C54: D3F3000C 1A021148
	v_mfma_f32_16x16x32_fp8_fp8 v[12:15], a[74:75], a[10:11], v[12:15]// 000000007C5C: D3F3000C 1C32154A
	buffer_load_dwordx4 a[220:223], v53, s[84:87], 0 offen offset:1024// 000000007C64: E05C1400 8095DC35
	v_mfma_f32_16x16x32_fp8_fp8 v[12:15], a[76:77], a[12:13], v[12:15]// 000000007C6C: D3F3000C 1C32194C
	v_mfma_f32_16x16x32_fp8_fp8 v[12:15], a[78:79], a[14:15], v[12:15]// 000000007C74: D3F3000C 1C321D4E
	v_fma_f32 v180, v8, v6, v180                               // 000000007C7C: D1CB00B4 06D20D08
	v_fma_f32 v181, v9, v6, v181                               // 000000007C84: D1CB00B5 06D60D09
	v_fma_f32 v182, v10, v6, v182                              // 000000007C8C: D1CB00B6 06DA0D0A
	v_fma_f32 v183, v11, v6, v183                              // 000000007C94: D1CB00B7 06DE0D0B
	v_mul_f32_dpp v4, v28, v37 row_newbcast:2 row_mask:0xf bank_mask:0xf// 000000007C9C: 0A084AFA FF01521C
	v_mfma_f32_16x16x32_fp8_fp8 v[8:11], a[80:81], a[8:9], 0   // 000000007CA4: D3F30008 1A021150
	v_mfma_f32_16x16x32_fp8_fp8 v[8:11], a[82:83], a[10:11], v[8:11]// 000000007CAC: D3F30008 1C221552
	buffer_load_dwordx4 a[224:227], v54, s[84:87], 0 offen     // 000000007CB4: E05C1000 8095E036
	v_mfma_f32_16x16x32_fp8_fp8 v[8:11], a[84:85], a[12:13], v[8:11]// 000000007CBC: D3F30008 1C221954
	v_mfma_f32_16x16x32_fp8_fp8 v[8:11], a[86:87], a[14:15], v[8:11]// 000000007CC4: D3F30008 1C221D56
	v_fma_f32 v192, v12, v6, v192                              // 000000007CCC: D1CB00C0 07020D0C
	v_fma_f32 v193, v13, v6, v193                              // 000000007CD4: D1CB00C1 07060D0D
	v_fma_f32 v194, v14, v6, v194                              // 000000007CDC: D1CB00C2 070A0D0E
	v_fma_f32 v195, v15, v6, v195                              // 000000007CE4: D1CB00C3 070E0D0F
	v_mfma_f32_16x16x32_fp8_fp8 v[12:15], a[88:89], a[8:9], 0  // 000000007CEC: D3F3000C 1A021158
	v_mfma_f32_16x16x32_fp8_fp8 v[12:15], a[90:91], a[10:11], v[12:15]// 000000007CF4: D3F3000C 1C32155A
	buffer_load_dwordx4 a[228:231], v54, s[84:87], 0 offen offset:1024// 000000007CFC: E05C1400 8095E436
	v_mfma_f32_16x16x32_fp8_fp8 v[12:15], a[92:93], a[12:13], v[12:15]// 000000007D04: D3F3000C 1C32195C
	v_mfma_f32_16x16x32_fp8_fp8 v[12:15], a[94:95], a[14:15], v[12:15]// 000000007D0C: D3F3000C 1C321D5E
	v_fma_f32 v204, v8, v4, v204                               // 000000007D14: D1CB00CC 07320908
	v_fma_f32 v205, v9, v4, v205                               // 000000007D1C: D1CB00CD 07360909
	v_fma_f32 v206, v10, v4, v206                              // 000000007D24: D1CB00CE 073A090A
	v_fma_f32 v207, v11, v4, v207                              // 000000007D2C: D1CB00CF 073E090B
	v_mul_f32_dpp v6, v28, v37 row_newbcast:3 row_mask:0xf bank_mask:0xf// 000000007D34: 0A0C4AFA FF01531C
	v_mfma_f32_16x16x32_fp8_fp8 v[8:11], a[96:97], a[8:9], 0   // 000000007D3C: D3F30008 1A021160
	v_mfma_f32_16x16x32_fp8_fp8 v[8:11], a[98:99], a[10:11], v[8:11]// 000000007D44: D3F30008 1C221562
	buffer_load_dwordx4 a[232:235], v55, s[84:87], 0 offen     // 000000007D4C: E05C1000 8095E837
	v_mfma_f32_16x16x32_fp8_fp8 v[8:11], a[100:101], a[12:13], v[8:11]// 000000007D54: D3F30008 1C221964
	v_mfma_f32_16x16x32_fp8_fp8 v[8:11], a[102:103], a[14:15], v[8:11]// 000000007D5C: D3F30008 1C221D66
	v_fma_f32 v216, v12, v4, v216                              // 000000007D64: D1CB00D8 0762090C
	v_fma_f32 v217, v13, v4, v217                              // 000000007D6C: D1CB00D9 0766090D
	v_fma_f32 v218, v14, v4, v218                              // 000000007D74: D1CB00DA 076A090E
	v_fma_f32 v219, v15, v4, v219                              // 000000007D7C: D1CB00DB 076E090F
	v_mfma_f32_16x16x32_fp8_fp8 v[12:15], a[104:105], a[8:9], 0// 000000007D84: D3F3000C 1A021168
	v_mfma_f32_16x16x32_fp8_fp8 v[12:15], a[106:107], a[10:11], v[12:15]// 000000007D8C: D3F3000C 1C32156A
	buffer_load_dwordx4 a[236:239], v55, s[84:87], 0 offen offset:1024// 000000007D94: E05C1400 8095EC37
	v_mfma_f32_16x16x32_fp8_fp8 v[12:15], a[108:109], a[12:13], v[12:15]// 000000007D9C: D3F3000C 1C32196C
	v_mfma_f32_16x16x32_fp8_fp8 v[12:15], a[110:111], a[14:15], v[12:15]// 000000007DA4: D3F3000C 1C321D6E
	v_fma_f32 v228, v8, v6, v228                               // 000000007DAC: D1CB00E4 07920D08
	v_fma_f32 v229, v9, v6, v229                               // 000000007DB4: D1CB00E5 07960D09
	v_fma_f32 v230, v10, v6, v230                              // 000000007DBC: D1CB00E6 079A0D0A
	v_fma_f32 v231, v11, v6, v231                              // 000000007DC4: D1CB00E7 079E0D0B
	v_mul_f32_dpp v4, v28, v38 row_newbcast:0 row_mask:0xf bank_mask:0xf// 000000007DCC: 0A084CFA FF01501C
	v_mfma_f32_16x16x32_fp8_fp8 v[8:11], a[48:49], a[16:17], 0 // 000000007DD4: D3F30008 1A022130
	v_mfma_f32_16x16x32_fp8_fp8 v[8:11], a[50:51], a[18:19], v[8:11]// 000000007DDC: D3F30008 1C222532
	v_mfma_f32_16x16x32_fp8_fp8 v[8:11], a[52:53], a[20:21], v[8:11]// 000000007DE4: D3F30008 1C222934
	v_mfma_f32_16x16x32_fp8_fp8 v[8:11], a[54:55], a[22:23], v[8:11]// 000000007DEC: D3F30008 1C222D36
	v_fma_f32 v240, v12, v6, v240                              // 000000007DF4: D1CB00F0 07C20D0C
	v_fma_f32 v241, v13, v6, v241                              // 000000007DFC: D1CB00F1 07C60D0D
	v_fma_f32 v242, v14, v6, v242                              // 000000007E04: D1CB00F2 07CA0D0E
	v_fma_f32 v243, v15, v6, v243                              // 000000007E0C: D1CB00F3 07CE0D0F
	v_mfma_f32_16x16x32_fp8_fp8 v[12:15], a[56:57], a[16:17], 0// 000000007E14: D3F3000C 1A022138
	v_mfma_f32_16x16x32_fp8_fp8 v[12:15], a[58:59], a[18:19], v[12:15]// 000000007E1C: D3F3000C 1C32253A
	v_mfma_f32_16x16x32_fp8_fp8 v[12:15], a[60:61], a[20:21], v[12:15]// 000000007E24: D3F3000C 1C32293C
	v_mfma_f32_16x16x32_fp8_fp8 v[12:15], a[62:63], a[22:23], v[12:15]// 000000007E2C: D3F3000C 1C322D3E
	v_fma_f32 v160, v8, v4, v160                               // 000000007E34: D1CB00A0 06820908
	v_fma_f32 v161, v9, v4, v161                               // 000000007E3C: D1CB00A1 06860909
	v_fma_f32 v162, v10, v4, v162                              // 000000007E44: D1CB00A2 068A090A
	v_fma_f32 v163, v11, v4, v163                              // 000000007E4C: D1CB00A3 068E090B
	v_mul_f32_dpp v6, v28, v38 row_newbcast:1 row_mask:0xf bank_mask:0xf// 000000007E54: 0A0C4CFA FF01511C
	v_mfma_f32_16x16x32_fp8_fp8 v[8:11], a[64:65], a[16:17], 0 // 000000007E5C: D3F30008 1A022140
	v_mfma_f32_16x16x32_fp8_fp8 v[8:11], a[66:67], a[18:19], v[8:11]// 000000007E64: D3F30008 1C222542
	v_mfma_f32_16x16x32_fp8_fp8 v[8:11], a[68:69], a[20:21], v[8:11]// 000000007E6C: D3F30008 1C222944
	v_mfma_f32_16x16x32_fp8_fp8 v[8:11], a[70:71], a[22:23], v[8:11]// 000000007E74: D3F30008 1C222D46
	v_fma_f32 v172, v12, v4, v172                              // 000000007E7C: D1CB00AC 06B2090C
	v_fma_f32 v173, v13, v4, v173                              // 000000007E84: D1CB00AD 06B6090D
	v_fma_f32 v174, v14, v4, v174                              // 000000007E8C: D1CB00AE 06BA090E
	v_fma_f32 v175, v15, v4, v175                              // 000000007E94: D1CB00AF 06BE090F
	v_mfma_f32_16x16x32_fp8_fp8 v[12:15], a[72:73], a[16:17], 0// 000000007E9C: D3F3000C 1A022148
	v_mfma_f32_16x16x32_fp8_fp8 v[12:15], a[74:75], a[18:19], v[12:15]// 000000007EA4: D3F3000C 1C32254A
	v_mfma_f32_16x16x32_fp8_fp8 v[12:15], a[76:77], a[20:21], v[12:15]// 000000007EAC: D3F3000C 1C32294C
	v_mfma_f32_16x16x32_fp8_fp8 v[12:15], a[78:79], a[22:23], v[12:15]// 000000007EB4: D3F3000C 1C322D4E
	v_fma_f32 v184, v8, v6, v184                               // 000000007EBC: D1CB00B8 06E20D08
	v_fma_f32 v185, v9, v6, v185                               // 000000007EC4: D1CB00B9 06E60D09
	v_fma_f32 v186, v10, v6, v186                              // 000000007ECC: D1CB00BA 06EA0D0A
	v_fma_f32 v187, v11, v6, v187                              // 000000007ED4: D1CB00BB 06EE0D0B
	v_mul_f32_dpp v4, v28, v38 row_newbcast:2 row_mask:0xf bank_mask:0xf// 000000007EDC: 0A084CFA FF01521C
	v_mfma_f32_16x16x32_fp8_fp8 v[8:11], a[80:81], a[16:17], 0 // 000000007EE4: D3F30008 1A022150
	v_mfma_f32_16x16x32_fp8_fp8 v[8:11], a[82:83], a[18:19], v[8:11]// 000000007EEC: D3F30008 1C222552
	v_mfma_f32_16x16x32_fp8_fp8 v[8:11], a[84:85], a[20:21], v[8:11]// 000000007EF4: D3F30008 1C222954
	v_mfma_f32_16x16x32_fp8_fp8 v[8:11], a[86:87], a[22:23], v[8:11]// 000000007EFC: D3F30008 1C222D56
	v_fma_f32 v196, v12, v6, v196                              // 000000007F04: D1CB00C4 07120D0C
	v_fma_f32 v197, v13, v6, v197                              // 000000007F0C: D1CB00C5 07160D0D
	v_fma_f32 v198, v14, v6, v198                              // 000000007F14: D1CB00C6 071A0D0E
	v_fma_f32 v199, v15, v6, v199                              // 000000007F1C: D1CB00C7 071E0D0F
	v_mfma_f32_16x16x32_fp8_fp8 v[12:15], a[88:89], a[16:17], 0// 000000007F24: D3F3000C 1A022158
	v_mfma_f32_16x16x32_fp8_fp8 v[12:15], a[90:91], a[18:19], v[12:15]// 000000007F2C: D3F3000C 1C32255A
	v_mfma_f32_16x16x32_fp8_fp8 v[12:15], a[92:93], a[20:21], v[12:15]// 000000007F34: D3F3000C 1C32295C
	v_mfma_f32_16x16x32_fp8_fp8 v[12:15], a[94:95], a[22:23], v[12:15]// 000000007F3C: D3F3000C 1C322D5E
	v_fma_f32 v208, v8, v4, v208                               // 000000007F44: D1CB00D0 07420908
	v_fma_f32 v209, v9, v4, v209                               // 000000007F4C: D1CB00D1 07460909
	v_fma_f32 v210, v10, v4, v210                              // 000000007F54: D1CB00D2 074A090A
	v_fma_f32 v211, v11, v4, v211                              // 000000007F5C: D1CB00D3 074E090B
	v_mul_f32_dpp v6, v28, v38 row_newbcast:3 row_mask:0xf bank_mask:0xf// 000000007F64: 0A0C4CFA FF01531C
	v_mfma_f32_16x16x32_fp8_fp8 v[8:11], a[96:97], a[16:17], 0 // 000000007F6C: D3F30008 1A022160
	s_add_u32 s60, 0x180, s80                                  // 000000007F74: 803C50FF 00000180
	s_cmp_lt_u32 s60, s81                                      // 000000007F7C: BF0A513C
	s_cselect_b32 s57, s57, 0                                  // 000000007F80: 85398039
	s_cselect_b32 s3, s3, 0                                    // 000000007F84: 85038003
	v_mfma_f32_16x16x32_fp8_fp8 v[8:11], a[98:99], a[18:19], v[8:11]// 000000007F88: D3F30008 1C222562
	s_add_u32 s60, 0x100, s80                                  // 000000007F90: 803C50FF 00000100
	s_cmp_lt_u32 s60, s81                                      // 000000007F98: BF0A513C
	s_cselect_b32 s58, s58, 0                                  // 000000007F9C: 853A803A
	v_mfma_f32_16x16x32_fp8_fp8 v[8:11], a[100:101], a[20:21], v[8:11]// 000000007FA0: D3F30008 1C222964
	s_add_u32 s60, 0x100, s80                                  // 000000007FA8: 803C50FF 00000100
	s_cmp_lt_u32 s60, s81                                      // 000000007FB0: BF0A513C
	s_cselect_b32 s83, s83, 0                                  // 000000007FB4: 85538053
	s_cselect_b32 s4, s4, 0                                    // 000000007FB8: 85048004
	v_mfma_f32_16x16x32_fp8_fp8 v[8:11], a[102:103], a[22:23], v[8:11]// 000000007FBC: D3F30008 1C222D66
	s_add_u32 s24, s58, s24                                    // 000000007FC4: 8018183A
	s_addc_u32 s25, 0, s25                                     // 000000007FC8: 82191980
	v_fma_f32 v220, v12, v4, v220                              // 000000007FCC: D1CB00DC 0772090C
	v_fma_f32 v221, v13, v4, v221                              // 000000007FD4: D1CB00DD 0776090D
	v_fma_f32 v222, v14, v4, v222                              // 000000007FDC: D1CB00DE 077A090E
	v_fma_f32 v223, v15, v4, v223                              // 000000007FE4: D1CB00DF 077E090F
	v_mfma_f32_16x16x32_fp8_fp8 v[12:15], a[104:105], a[16:17], 0// 000000007FEC: D3F3000C 1A022168
	s_add_u32 s20, s57, s20                                    // 000000007FF4: 80141439
	s_addc_u32 s21, 0, s21                                     // 000000007FF8: 82151580
	s_add_u32 s28, s3, s28                                     // 000000007FFC: 801C1C03
	s_addc_u32 s29, 0, s29                                     // 000000008000: 821D1D80
	v_mfma_f32_16x16x32_fp8_fp8 v[12:15], a[106:107], a[18:19], v[12:15]// 000000008004: D3F3000C 1C32256A
	s_add_u32 s84, s83, s84                                    // 00000000800C: 80545453
	s_addc_u32 s85, 0, s85                                     // 000000008010: 82555580
	v_mfma_f32_16x16x32_fp8_fp8 v[12:15], a[108:109], a[20:21], v[12:15]// 000000008014: D3F3000C 1C32296C
	s_add_u32 s32, s4, s32                                     // 00000000801C: 80202004
	s_addc_u32 s33, 0, s33                                     // 000000008020: 82212180
	v_mfma_f32_16x16x32_fp8_fp8 v[12:15], a[110:111], a[22:23], v[12:15]// 000000008024: D3F3000C 1C322D6E
	v_fma_f32 v232, v8, v6, v232                               // 00000000802C: D1CB00E8 07A20D08
	v_fma_f32 v233, v9, v6, v233                               // 000000008034: D1CB00E9 07A60D09
	v_fma_f32 v234, v10, v6, v234                              // 00000000803C: D1CB00EA 07AA0D0A
	v_fma_f32 v235, v11, v6, v235                              // 000000008044: D1CB00EB 07AE0D0B
	v_fma_f32 v244, v12, v6, v244                              // 00000000804C: D1CB00F4 07D20D0C
	v_fma_f32 v245, v13, v6, v245                              // 000000008054: D1CB00F5 07D60D0D
	v_fma_f32 v246, v14, v6, v246                              // 00000000805C: D1CB00F6 07DA0D0E
	v_fma_f32 v247, v15, v6, v247                              // 000000008064: D1CB00F7 07DE0D0F
	s_addk_i32 s80, 0x80                                       // 00000000806C: B7500080
	s_cmp_lt_i32 s80, s81                                      // 000000008070: BF045150
	s_cbranch_scc0 label_195A                                  // 000000008074: BF8403BC
	s_waitcnt vmcnt(26) lgkmcnt(0)                             // 000000008078: BF8C407A
	v_mul_f32_dpp v4, v26, v39 row_newbcast:0 row_mask:0xf bank_mask:0xf// 00000000807C: 0A084EFA FF01501A
	v_mfma_f32_16x16x32_fp8_fp8 v[8:11], a[112:113], a[24:25], 0// 000000008084: D3F30008 1A023170
	buffer_load_dword v24, v22, s[32:35], 0 offen              // 00000000808C: E0501000 80081816
	v_mfma_f32_16x16x32_fp8_fp8 v[8:11], a[114:115], a[26:27], v[8:11]// 000000008094: D3F30008 1C223572
	buffer_load_dwordx4 a[48:51], v48, s[24:27], 0 offen       // 00000000809C: E05C1000 80863030
	v_mfma_f32_16x16x32_fp8_fp8 v[8:11], a[116:117], a[28:29], v[8:11]// 0000000080A4: D3F30008 1C223974
	v_mfma_f32_16x16x32_fp8_fp8 v[8:11], a[118:119], a[30:31], v[8:11]// 0000000080AC: D3F30008 1C223D76
	v_mfma_f32_16x16x32_fp8_fp8 v[12:15], a[120:121], a[24:25], 0// 0000000080B4: D3F3000C 1A023178
	v_mfma_f32_16x16x32_fp8_fp8 v[12:15], a[122:123], a[26:27], v[12:15]// 0000000080BC: D3F3000C 1C32357A
	buffer_load_dwordx4 a[52:55], v48, s[24:27], 0 offen offset:1024// 0000000080C4: E05C1400 80863430
	v_mfma_f32_16x16x32_fp8_fp8 v[12:15], a[124:125], a[28:29], v[12:15]// 0000000080CC: D3F3000C 1C32397C
	v_mfma_f32_16x16x32_fp8_fp8 v[12:15], a[126:127], a[30:31], v[12:15]// 0000000080D4: D3F3000C 1C323D7E
	v_fma_f32 v56, v8, v4, v56                                 // 0000000080DC: D1CB0038 04E20908
	v_fma_f32 v57, v9, v4, v57                                 // 0000000080E4: D1CB0039 04E60909
	v_fma_f32 v58, v10, v4, v58                                // 0000000080EC: D1CB003A 04EA090A
	v_fma_f32 v59, v11, v4, v59                                // 0000000080F4: D1CB003B 04EE090B
	v_mul_f32_dpp v6, v26, v39 row_newbcast:1 row_mask:0xf bank_mask:0xf// 0000000080FC: 0A0C4EFA FF01511A
	v_mfma_f32_16x16x32_fp8_fp8 v[8:11], a[128:129], a[24:25], 0// 000000008104: D3F30008 1A023180
	v_mfma_f32_16x16x32_fp8_fp8 v[8:11], a[130:131], a[26:27], v[8:11]// 00000000810C: D3F30008 1C223582
	buffer_load_dwordx4 a[56:59], v49, s[24:27], 0 offen       // 000000008114: E05C1000 80863831
	v_mfma_f32_16x16x32_fp8_fp8 v[8:11], a[132:133], a[28:29], v[8:11]// 00000000811C: D3F30008 1C223984
	v_mfma_f32_16x16x32_fp8_fp8 v[8:11], a[134:135], a[30:31], v[8:11]// 000000008124: D3F30008 1C223D86
	v_fma_f32 v68, v12, v4, v68                                // 00000000812C: D1CB0044 0512090C
	v_fma_f32 v69, v13, v4, v69                                // 000000008134: D1CB0045 0516090D
	v_fma_f32 v70, v14, v4, v70                                // 00000000813C: D1CB0046 051A090E
	v_fma_f32 v71, v15, v4, v71                                // 000000008144: D1CB0047 051E090F
	v_mfma_f32_16x16x32_fp8_fp8 v[12:15], a[136:137], a[24:25], 0// 00000000814C: D3F3000C 1A023188
	v_mfma_f32_16x16x32_fp8_fp8 v[12:15], a[138:139], a[26:27], v[12:15]// 000000008154: D3F3000C 1C32358A
	buffer_load_dwordx4 a[60:63], v49, s[24:27], 0 offen offset:1024// 00000000815C: E05C1400 80863C31
	v_mfma_f32_16x16x32_fp8_fp8 v[12:15], a[140:141], a[28:29], v[12:15]// 000000008164: D3F3000C 1C32398C
	v_mfma_f32_16x16x32_fp8_fp8 v[12:15], a[142:143], a[30:31], v[12:15]// 00000000816C: D3F3000C 1C323D8E
	v_fma_f32 v80, v8, v6, v80                                 // 000000008174: D1CB0050 05420D08
	v_fma_f32 v81, v9, v6, v81                                 // 00000000817C: D1CB0051 05460D09
	v_fma_f32 v82, v10, v6, v82                                // 000000008184: D1CB0052 054A0D0A
	v_fma_f32 v83, v11, v6, v83                                // 00000000818C: D1CB0053 054E0D0B
	v_mul_f32_dpp v4, v26, v39 row_newbcast:2 row_mask:0xf bank_mask:0xf// 000000008194: 0A084EFA FF01521A
	v_mfma_f32_16x16x32_fp8_fp8 v[8:11], a[144:145], a[24:25], 0// 00000000819C: D3F30008 1A023190
	v_mfma_f32_16x16x32_fp8_fp8 v[8:11], a[146:147], a[26:27], v[8:11]// 0000000081A4: D3F30008 1C223592
	buffer_load_dwordx4 a[64:67], v50, s[24:27], 0 offen       // 0000000081AC: E05C1000 80864032
	v_mfma_f32_16x16x32_fp8_fp8 v[8:11], a[148:149], a[28:29], v[8:11]// 0000000081B4: D3F30008 1C223994
	v_mfma_f32_16x16x32_fp8_fp8 v[8:11], a[150:151], a[30:31], v[8:11]// 0000000081BC: D3F30008 1C223D96
	v_fma_f32 v92, v12, v6, v92                                // 0000000081C4: D1CB005C 05720D0C
	v_fma_f32 v93, v13, v6, v93                                // 0000000081CC: D1CB005D 05760D0D
	v_fma_f32 v94, v14, v6, v94                                // 0000000081D4: D1CB005E 057A0D0E
	v_fma_f32 v95, v15, v6, v95                                // 0000000081DC: D1CB005F 057E0D0F
	v_mfma_f32_16x16x32_fp8_fp8 v[12:15], a[152:153], a[24:25], 0// 0000000081E4: D3F3000C 1A023198
	v_mfma_f32_16x16x32_fp8_fp8 v[12:15], a[154:155], a[26:27], v[12:15]// 0000000081EC: D3F3000C 1C32359A
	buffer_load_dwordx4 a[68:71], v50, s[24:27], 0 offen offset:1024// 0000000081F4: E05C1400 80864432
	v_mfma_f32_16x16x32_fp8_fp8 v[12:15], a[156:157], a[28:29], v[12:15]// 0000000081FC: D3F3000C 1C32399C
	v_mfma_f32_16x16x32_fp8_fp8 v[12:15], a[158:159], a[30:31], v[12:15]// 000000008204: D3F3000C 1C323D9E
	v_fma_f32 v104, v8, v4, v104                               // 00000000820C: D1CB0068 05A20908
	v_fma_f32 v105, v9, v4, v105                               // 000000008214: D1CB0069 05A60909
	v_fma_f32 v106, v10, v4, v106                              // 00000000821C: D1CB006A 05AA090A
	v_fma_f32 v107, v11, v4, v107                              // 000000008224: D1CB006B 05AE090B
	v_mul_f32_dpp v6, v26, v39 row_newbcast:3 row_mask:0xf bank_mask:0xf// 00000000822C: 0A0C4EFA FF01531A
	v_mfma_f32_16x16x32_fp8_fp8 v[8:11], a[160:161], a[24:25], 0// 000000008234: D3F30008 1A0231A0
	v_mfma_f32_16x16x32_fp8_fp8 v[8:11], a[162:163], a[26:27], v[8:11]// 00000000823C: D3F30008 1C2235A2
	buffer_load_dwordx4 a[72:75], v51, s[24:27], 0 offen       // 000000008244: E05C1000 80864833
	v_mfma_f32_16x16x32_fp8_fp8 v[8:11], a[164:165], a[28:29], v[8:11]// 00000000824C: D3F30008 1C2239A4
	v_mfma_f32_16x16x32_fp8_fp8 v[8:11], a[166:167], a[30:31], v[8:11]// 000000008254: D3F30008 1C223DA6
	v_fma_f32 v116, v12, v4, v116                              // 00000000825C: D1CB0074 05D2090C
	v_fma_f32 v117, v13, v4, v117                              // 000000008264: D1CB0075 05D6090D
	v_fma_f32 v118, v14, v4, v118                              // 00000000826C: D1CB0076 05DA090E
	v_fma_f32 v119, v15, v4, v119                              // 000000008274: D1CB0077 05DE090F
	v_mfma_f32_16x16x32_fp8_fp8 v[12:15], a[168:169], a[24:25], 0// 00000000827C: D3F3000C 1A0231A8
	v_mfma_f32_16x16x32_fp8_fp8 v[12:15], a[170:171], a[26:27], v[12:15]// 000000008284: D3F3000C 1C3235AA
	buffer_load_dwordx4 a[76:79], v51, s[24:27], 0 offen offset:1024// 00000000828C: E05C1400 80864C33
	v_mfma_f32_16x16x32_fp8_fp8 v[12:15], a[172:173], a[28:29], v[12:15]// 000000008294: D3F3000C 1C3239AC
	v_mfma_f32_16x16x32_fp8_fp8 v[12:15], a[174:175], a[30:31], v[12:15]// 00000000829C: D3F3000C 1C323DAE
	v_fma_f32 v128, v8, v6, v128                               // 0000000082A4: D1CB0080 06020D08
	v_fma_f32 v129, v9, v6, v129                               // 0000000082AC: D1CB0081 06060D09
	v_fma_f32 v130, v10, v6, v130                              // 0000000082B4: D1CB0082 060A0D0A
	v_fma_f32 v131, v11, v6, v131                              // 0000000082BC: D1CB0083 060E0D0B
	v_mul_f32_dpp v4, v26, v40 row_newbcast:0 row_mask:0xf bank_mask:0xf// 0000000082C4: 0A0850FA FF01501A
	v_mfma_f32_16x16x32_fp8_fp8 v[8:11], a[112:113], a[32:33], 0// 0000000082CC: D3F30008 1A024170
	v_mfma_f32_16x16x32_fp8_fp8 v[8:11], a[114:115], a[34:35], v[8:11]// 0000000082D4: D3F30008 1C224572
	buffer_load_dwordx4 a[80:83], v52, s[24:27], 0 offen       // 0000000082DC: E05C1000 80865034
	v_mfma_f32_16x16x32_fp8_fp8 v[8:11], a[116:117], a[36:37], v[8:11]// 0000000082E4: D3F30008 1C224974
	v_mfma_f32_16x16x32_fp8_fp8 v[8:11], a[118:119], a[38:39], v[8:11]// 0000000082EC: D3F30008 1C224D76
	v_fma_f32 v140, v12, v6, v140                              // 0000000082F4: D1CB008C 06320D0C
	v_fma_f32 v141, v13, v6, v141                              // 0000000082FC: D1CB008D 06360D0D
	v_fma_f32 v142, v14, v6, v142                              // 000000008304: D1CB008E 063A0D0E
	v_fma_f32 v143, v15, v6, v143                              // 00000000830C: D1CB008F 063E0D0F
	v_mfma_f32_16x16x32_fp8_fp8 v[12:15], a[120:121], a[32:33], 0// 000000008314: D3F3000C 1A024178
	v_mfma_f32_16x16x32_fp8_fp8 v[12:15], a[122:123], a[34:35], v[12:15]// 00000000831C: D3F3000C 1C32457A
	buffer_load_dwordx4 a[84:87], v52, s[24:27], 0 offen offset:1024// 000000008324: E05C1400 80865434
	v_mfma_f32_16x16x32_fp8_fp8 v[12:15], a[124:125], a[36:37], v[12:15]// 00000000832C: D3F3000C 1C32497C
	v_mfma_f32_16x16x32_fp8_fp8 v[12:15], a[126:127], a[38:39], v[12:15]// 000000008334: D3F3000C 1C324D7E
	v_fma_f32 v60, v8, v4, v60                                 // 00000000833C: D1CB003C 04F20908
	v_fma_f32 v61, v9, v4, v61                                 // 000000008344: D1CB003D 04F60909
	v_fma_f32 v62, v10, v4, v62                                // 00000000834C: D1CB003E 04FA090A
	v_fma_f32 v63, v11, v4, v63                                // 000000008354: D1CB003F 04FE090B
	v_mul_f32_dpp v6, v26, v40 row_newbcast:1 row_mask:0xf bank_mask:0xf// 00000000835C: 0A0C50FA FF01511A
	v_mfma_f32_16x16x32_fp8_fp8 v[8:11], a[128:129], a[32:33], 0// 000000008364: D3F30008 1A024180
	v_mfma_f32_16x16x32_fp8_fp8 v[8:11], a[130:131], a[34:35], v[8:11]// 00000000836C: D3F30008 1C224582
	buffer_load_dwordx4 a[88:91], v53, s[24:27], 0 offen       // 000000008374: E05C1000 80865835
	v_mfma_f32_16x16x32_fp8_fp8 v[8:11], a[132:133], a[36:37], v[8:11]// 00000000837C: D3F30008 1C224984
	v_mfma_f32_16x16x32_fp8_fp8 v[8:11], a[134:135], a[38:39], v[8:11]// 000000008384: D3F30008 1C224D86
	v_fma_f32 v72, v12, v4, v72                                // 00000000838C: D1CB0048 0522090C
	v_fma_f32 v73, v13, v4, v73                                // 000000008394: D1CB0049 0526090D
	v_fma_f32 v74, v14, v4, v74                                // 00000000839C: D1CB004A 052A090E
	v_fma_f32 v75, v15, v4, v75                                // 0000000083A4: D1CB004B 052E090F
	v_mfma_f32_16x16x32_fp8_fp8 v[12:15], a[136:137], a[32:33], 0// 0000000083AC: D3F3000C 1A024188
	v_mfma_f32_16x16x32_fp8_fp8 v[12:15], a[138:139], a[34:35], v[12:15]// 0000000083B4: D3F3000C 1C32458A
	buffer_load_dwordx4 a[92:95], v53, s[24:27], 0 offen offset:1024// 0000000083BC: E05C1400 80865C35
	v_mfma_f32_16x16x32_fp8_fp8 v[12:15], a[140:141], a[36:37], v[12:15]// 0000000083C4: D3F3000C 1C32498C
	v_mfma_f32_16x16x32_fp8_fp8 v[12:15], a[142:143], a[38:39], v[12:15]// 0000000083CC: D3F3000C 1C324D8E
	v_fma_f32 v84, v8, v6, v84                                 // 0000000083D4: D1CB0054 05520D08
	v_fma_f32 v85, v9, v6, v85                                 // 0000000083DC: D1CB0055 05560D09
	v_fma_f32 v86, v10, v6, v86                                // 0000000083E4: D1CB0056 055A0D0A
	v_fma_f32 v87, v11, v6, v87                                // 0000000083EC: D1CB0057 055E0D0B
	v_mul_f32_dpp v4, v26, v40 row_newbcast:2 row_mask:0xf bank_mask:0xf// 0000000083F4: 0A0850FA FF01521A
	v_mfma_f32_16x16x32_fp8_fp8 v[8:11], a[144:145], a[32:33], 0// 0000000083FC: D3F30008 1A024190
	v_mfma_f32_16x16x32_fp8_fp8 v[8:11], a[146:147], a[34:35], v[8:11]// 000000008404: D3F30008 1C224592
	buffer_load_dwordx4 a[96:99], v54, s[24:27], 0 offen       // 00000000840C: E05C1000 80866036
	v_mfma_f32_16x16x32_fp8_fp8 v[8:11], a[148:149], a[36:37], v[8:11]// 000000008414: D3F30008 1C224994
	v_mfma_f32_16x16x32_fp8_fp8 v[8:11], a[150:151], a[38:39], v[8:11]// 00000000841C: D3F30008 1C224D96
	v_fma_f32 v96, v12, v6, v96                                // 000000008424: D1CB0060 05820D0C
	v_fma_f32 v97, v13, v6, v97                                // 00000000842C: D1CB0061 05860D0D
	v_fma_f32 v98, v14, v6, v98                                // 000000008434: D1CB0062 058A0D0E
	v_fma_f32 v99, v15, v6, v99                                // 00000000843C: D1CB0063 058E0D0F
	v_mfma_f32_16x16x32_fp8_fp8 v[12:15], a[152:153], a[32:33], 0// 000000008444: D3F3000C 1A024198
	v_mfma_f32_16x16x32_fp8_fp8 v[12:15], a[154:155], a[34:35], v[12:15]// 00000000844C: D3F3000C 1C32459A
	buffer_load_dwordx4 a[100:103], v54, s[24:27], 0 offen offset:1024// 000000008454: E05C1400 80866436
	v_mfma_f32_16x16x32_fp8_fp8 v[12:15], a[156:157], a[36:37], v[12:15]// 00000000845C: D3F3000C 1C32499C
	v_mfma_f32_16x16x32_fp8_fp8 v[12:15], a[158:159], a[38:39], v[12:15]// 000000008464: D3F3000C 1C324D9E
	v_fma_f32 v108, v8, v4, v108                               // 00000000846C: D1CB006C 05B20908
	v_fma_f32 v109, v9, v4, v109                               // 000000008474: D1CB006D 05B60909
	v_fma_f32 v110, v10, v4, v110                              // 00000000847C: D1CB006E 05BA090A
	v_fma_f32 v111, v11, v4, v111                              // 000000008484: D1CB006F 05BE090B
	v_mul_f32_dpp v6, v26, v40 row_newbcast:3 row_mask:0xf bank_mask:0xf// 00000000848C: 0A0C50FA FF01531A
	v_mfma_f32_16x16x32_fp8_fp8 v[8:11], a[160:161], a[32:33], 0// 000000008494: D3F30008 1A0241A0
	v_mfma_f32_16x16x32_fp8_fp8 v[8:11], a[162:163], a[34:35], v[8:11]// 00000000849C: D3F30008 1C2245A2
	buffer_load_dwordx4 a[104:107], v55, s[24:27], 0 offen     // 0000000084A4: E05C1000 80866837
	v_mfma_f32_16x16x32_fp8_fp8 v[8:11], a[164:165], a[36:37], v[8:11]// 0000000084AC: D3F30008 1C2249A4
	v_mfma_f32_16x16x32_fp8_fp8 v[8:11], a[166:167], a[38:39], v[8:11]// 0000000084B4: D3F30008 1C224DA6
	v_fma_f32 v120, v12, v4, v120                              // 0000000084BC: D1CB0078 05E2090C
	v_fma_f32 v121, v13, v4, v121                              // 0000000084C4: D1CB0079 05E6090D
	v_fma_f32 v122, v14, v4, v122                              // 0000000084CC: D1CB007A 05EA090E
	v_fma_f32 v123, v15, v4, v123                              // 0000000084D4: D1CB007B 05EE090F
	v_mfma_f32_16x16x32_fp8_fp8 v[12:15], a[168:169], a[32:33], 0// 0000000084DC: D3F3000C 1A0241A8
	v_mfma_f32_16x16x32_fp8_fp8 v[12:15], a[170:171], a[34:35], v[12:15]// 0000000084E4: D3F3000C 1C3245AA
	buffer_load_dwordx4 a[108:111], v55, s[24:27], 0 offen offset:1024// 0000000084EC: E05C1400 80866C37
	buffer_load_dword v42, s[20:23], 0 offen lds               // 0000000084F4: E0511000 8005002A
	s_add_u32 m0, 0x100, s49                                   // 0000000084FC: 807C31FF 00000100
	v_mfma_f32_16x16x32_fp8_fp8 v[12:15], a[172:173], a[36:37], v[12:15]// 000000008504: D3F3000C 1C3249AC
	v_mfma_f32_16x16x32_fp8_fp8 v[12:15], a[174:175], a[38:39], v[12:15]// 00000000850C: D3F3000C 1C324DAE
	buffer_load_dword v43, s[20:23], 0 offen lds               // 000000008514: E0511000 8005002B
	s_add_u32 m0, 0x200, s49                                   // 00000000851C: 807C31FF 00000200
	v_fma_f32 v132, v8, v6, v132                               // 000000008524: D1CB0084 06120D08
	v_fma_f32 v133, v9, v6, v133                               // 00000000852C: D1CB0085 06160D09
	v_fma_f32 v134, v10, v6, v134                              // 000000008534: D1CB0086 061A0D0A
	v_fma_f32 v135, v11, v6, v135                              // 00000000853C: D1CB0087 061E0D0B
	v_mul_f32_dpp v4, v26, v41 row_newbcast:0 row_mask:0xf bank_mask:0xf// 000000008544: 0A0852FA FF01501A
	v_mfma_f32_16x16x32_fp8_fp8 v[8:11], a[112:113], a[40:41], 0// 00000000854C: D3F30008 1A025170
	v_mfma_f32_16x16x32_fp8_fp8 v[8:11], a[114:115], a[42:43], v[8:11]// 000000008554: D3F30008 1C225572
	buffer_load_dword v44, s[20:23], 0 offen lds               // 00000000855C: E0511000 8005002C
	s_add_u32 m0, 0x300, s49                                   // 000000008564: 807C31FF 00000300
	v_mfma_f32_16x16x32_fp8_fp8 v[8:11], a[116:117], a[44:45], v[8:11]// 00000000856C: D3F30008 1C225974
	v_mfma_f32_16x16x32_fp8_fp8 v[8:11], a[118:119], a[46:47], v[8:11]// 000000008574: D3F30008 1C225D76
	buffer_load_dword v45, s[20:23], 0 offen lds               // 00000000857C: E0511000 8005002D
	s_add_u32 m0, 0x400, s49                                   // 000000008584: 807C31FF 00000400
	v_fma_f32 v144, v12, v6, v144                              // 00000000858C: D1CB0090 06420D0C
	v_fma_f32 v145, v13, v6, v145                              // 000000008594: D1CB0091 06460D0D
	v_fma_f32 v146, v14, v6, v146                              // 00000000859C: D1CB0092 064A0D0E
	v_fma_f32 v147, v15, v6, v147                              // 0000000085A4: D1CB0093 064E0D0F
	v_mfma_f32_16x16x32_fp8_fp8 v[12:15], a[120:121], a[40:41], 0// 0000000085AC: D3F3000C 1A025178
	v_mfma_f32_16x16x32_fp8_fp8 v[12:15], a[122:123], a[42:43], v[12:15]// 0000000085B4: D3F3000C 1C32557A
	buffer_load_dword v46, s[20:23], 0 offen lds               // 0000000085BC: E0511000 8005002E
	s_add_u32 m0, 0x500, s49                                   // 0000000085C4: 807C31FF 00000500
	v_mfma_f32_16x16x32_fp8_fp8 v[12:15], a[124:125], a[44:45], v[12:15]// 0000000085CC: D3F3000C 1C32597C
	v_mfma_f32_16x16x32_fp8_fp8 v[12:15], a[126:127], a[46:47], v[12:15]// 0000000085D4: D3F3000C 1C325D7E
	buffer_load_dword v47, s[20:23], 0 offen lds               // 0000000085DC: E0511000 8005002F
	s_add_u32 m0, 0, s50                                       // 0000000085E4: 807C3280
	v_fma_f32 v64, v8, v4, v64                                 // 0000000085E8: D1CB0040 05020908
	v_fma_f32 v65, v9, v4, v65                                 // 0000000085F0: D1CB0041 05060909
	v_fma_f32 v66, v10, v4, v66                                // 0000000085F8: D1CB0042 050A090A
	v_fma_f32 v67, v11, v4, v67                                // 000000008600: D1CB0043 050E090B
	v_mul_f32_dpp v6, v26, v41 row_newbcast:1 row_mask:0xf bank_mask:0xf// 000000008608: 0A0C52FA FF01511A
	v_mfma_f32_16x16x32_fp8_fp8 v[8:11], a[128:129], a[40:41], 0// 000000008610: D3F30008 1A025180
	v_mfma_f32_16x16x32_fp8_fp8 v[8:11], a[130:131], a[42:43], v[8:11]// 000000008618: D3F30008 1C225582
	buffer_load_dword v36, v30, s[28:31], 0 offen              // 000000008620: E0501000 8007241E
	v_mfma_f32_16x16x32_fp8_fp8 v[8:11], a[132:133], a[44:45], v[8:11]// 000000008628: D3F30008 1C225984
	v_mfma_f32_16x16x32_fp8_fp8 v[8:11], a[134:135], a[46:47], v[8:11]// 000000008630: D3F30008 1C225D86
	buffer_load_dword v37, v31, s[28:31], 0 offen              // 000000008638: E0501000 8007251F
	v_fma_f32 v76, v12, v4, v76                                // 000000008640: D1CB004C 0532090C
	v_fma_f32 v77, v13, v4, v77                                // 000000008648: D1CB004D 0536090D
	v_fma_f32 v78, v14, v4, v78                                // 000000008650: D1CB004E 053A090E
	v_fma_f32 v79, v15, v4, v79                                // 000000008658: D1CB004F 053E090F
	v_mfma_f32_16x16x32_fp8_fp8 v[12:15], a[136:137], a[40:41], 0// 000000008660: D3F3000C 1A025188
	v_mfma_f32_16x16x32_fp8_fp8 v[12:15], a[138:139], a[42:43], v[12:15]// 000000008668: D3F3000C 1C32558A
	buffer_load_dword v38, v32, s[28:31], 0 offen              // 000000008670: E0501000 80072620
	v_mfma_f32_16x16x32_fp8_fp8 v[12:15], a[140:141], a[44:45], v[12:15]// 000000008678: D3F3000C 1C32598C
	v_mfma_f32_16x16x32_fp8_fp8 v[12:15], a[142:143], a[46:47], v[12:15]// 000000008680: D3F3000C 1C325D8E
	v_fma_f32 v88, v8, v6, v88                                 // 000000008688: D1CB0058 05620D08
	v_fma_f32 v89, v9, v6, v89                                 // 000000008690: D1CB0059 05660D09
	v_fma_f32 v90, v10, v6, v90                                // 000000008698: D1CB005A 056A0D0A
	v_fma_f32 v91, v11, v6, v91                                // 0000000086A0: D1CB005B 056E0D0B
	v_mul_f32_dpp v4, v26, v41 row_newbcast:2 row_mask:0xf bank_mask:0xf// 0000000086A8: 0A0852FA FF01521A
	v_mfma_f32_16x16x32_fp8_fp8 v[8:11], a[144:145], a[40:41], 0// 0000000086B0: D3F30008 1A025190
	v_mfma_f32_16x16x32_fp8_fp8 v[8:11], a[146:147], a[42:43], v[8:11]// 0000000086B8: D3F30008 1C225592
	v_mfma_f32_16x16x32_fp8_fp8 v[8:11], a[148:149], a[44:45], v[8:11]// 0000000086C0: D3F30008 1C225994
	v_mfma_f32_16x16x32_fp8_fp8 v[8:11], a[150:151], a[46:47], v[8:11]// 0000000086C8: D3F30008 1C225D96
	v_fma_f32 v100, v12, v6, v100                              // 0000000086D0: D1CB0064 05920D0C
	v_fma_f32 v101, v13, v6, v101                              // 0000000086D8: D1CB0065 05960D0D
	v_fma_f32 v102, v14, v6, v102                              // 0000000086E0: D1CB0066 059A0D0E
	v_fma_f32 v103, v15, v6, v103                              // 0000000086E8: D1CB0067 059E0D0F
	v_mfma_f32_16x16x32_fp8_fp8 v[12:15], a[152:153], a[40:41], 0// 0000000086F0: D3F3000C 1A025198
	v_mfma_f32_16x16x32_fp8_fp8 v[12:15], a[154:155], a[42:43], v[12:15]// 0000000086F8: D3F3000C 1C32559A
	v_mfma_f32_16x16x32_fp8_fp8 v[12:15], a[156:157], a[44:45], v[12:15]// 000000008700: D3F3000C 1C32599C
	v_mfma_f32_16x16x32_fp8_fp8 v[12:15], a[158:159], a[46:47], v[12:15]// 000000008708: D3F3000C 1C325D9E
	v_fma_f32 v112, v8, v4, v112                               // 000000008710: D1CB0070 05C20908
	v_fma_f32 v113, v9, v4, v113                               // 000000008718: D1CB0071 05C60909
	v_fma_f32 v114, v10, v4, v114                              // 000000008720: D1CB0072 05CA090A
	v_fma_f32 v115, v11, v4, v115                              // 000000008728: D1CB0073 05CE090B
	v_mul_f32_dpp v6, v26, v41 row_newbcast:3 row_mask:0xf bank_mask:0xf// 000000008730: 0A0C52FA FF01531A
	v_mfma_f32_16x16x32_fp8_fp8 v[8:11], a[160:161], a[40:41], 0// 000000008738: D3F30008 1A0251A0
	v_mfma_f32_16x16x32_fp8_fp8 v[8:11], a[162:163], a[42:43], v[8:11]// 000000008740: D3F30008 1C2255A2
	v_mfma_f32_16x16x32_fp8_fp8 v[8:11], a[164:165], a[44:45], v[8:11]// 000000008748: D3F30008 1C2259A4
	v_mfma_f32_16x16x32_fp8_fp8 v[8:11], a[166:167], a[46:47], v[8:11]// 000000008750: D3F30008 1C225DA6
	v_fma_f32 v124, v12, v4, v124                              // 000000008758: D1CB007C 05F2090C
	v_fma_f32 v125, v13, v4, v125                              // 000000008760: D1CB007D 05F6090D
	v_fma_f32 v126, v14, v4, v126                              // 000000008768: D1CB007E 05FA090E
	v_fma_f32 v127, v15, v4, v127                              // 000000008770: D1CB007F 05FE090F
	v_mfma_f32_16x16x32_fp8_fp8 v[12:15], a[168:169], a[40:41], 0// 000000008778: D3F3000C 1A0251A8
	v_mfma_f32_16x16x32_fp8_fp8 v[12:15], a[170:171], a[42:43], v[12:15]// 000000008780: D3F3000C 1C3255AA
	v_mfma_f32_16x16x32_fp8_fp8 v[12:15], a[172:173], a[44:45], v[12:15]// 000000008788: D3F3000C 1C3259AC
	v_mfma_f32_16x16x32_fp8_fp8 v[12:15], a[174:175], a[46:47], v[12:15]// 000000008790: D3F3000C 1C325DAE
	v_fma_f32 v136, v8, v6, v136                               // 000000008798: D1CB0088 06220D08
	v_fma_f32 v137, v9, v6, v137                               // 0000000087A0: D1CB0089 06260D09
	v_fma_f32 v138, v10, v6, v138                              // 0000000087A8: D1CB008A 062A0D0A
	v_fma_f32 v139, v11, v6, v139                              // 0000000087B0: D1CB008B 062E0D0B
	v_fma_f32 v148, v12, v6, v148                              // 0000000087B8: D1CB0094 06520D0C
	v_fma_f32 v149, v13, v6, v149                              // 0000000087C0: D1CB0095 06560D0D
	v_fma_f32 v150, v14, v6, v150                              // 0000000087C8: D1CB0096 065A0D0E
	v_fma_f32 v151, v15, v6, v151                              // 0000000087D0: D1CB0097 065E0D0F
	s_waitcnt vmcnt(26)                                        // 0000000087D8: BF8C4F7A
	s_barrier                                                  // 0000000087DC: BF8A0000
	v_mul_f32_dpp v4, v29, v39 row_newbcast:0 row_mask:0xf bank_mask:0xf// 0000000087E0: 0A084EFA FF01501D
	v_mfma_f32_16x16x32_fp8_fp8 v[8:11], a[176:177], a[24:25], 0// 0000000087E8: D3F30008 1A0231B0
	buffer_load_dword v27, v23, s[32:35], 0 offen              // 0000000087F0: E0501000 80081B17
	v_mfma_f32_16x16x32_fp8_fp8 v[8:11], a[178:179], a[26:27], v[8:11]// 0000000087F8: D3F30008 1C2235B2
	buffer_load_dwordx4 a[112:115], v48, s[84:87], 0 offen     // 000000008800: E05C1000 80957030
	v_mfma_f32_16x16x32_fp8_fp8 v[8:11], a[180:181], a[28:29], v[8:11]// 000000008808: D3F30008 1C2239B4
	v_mfma_f32_16x16x32_fp8_fp8 v[8:11], a[182:183], a[30:31], v[8:11]// 000000008810: D3F30008 1C223DB6
	ds_read_b128 a[0:3], v2                                    // 000000008818: DBFE0000 00000002
	ds_read_b128 a[4:7], v2 offset:64                          // 000000008820: DBFE0040 04000002
	v_mfma_f32_16x16x32_fp8_fp8 v[12:15], a[184:185], a[24:25], 0// 000000008828: D3F3000C 1A0231B8
	v_mfma_f32_16x16x32_fp8_fp8 v[12:15], a[186:187], a[26:27], v[12:15]// 000000008830: D3F3000C 1C3235BA
	buffer_load_dwordx4 a[116:119], v48, s[84:87], 0 offen offset:1024// 000000008838: E05C1400 80957430
	v_mfma_f32_16x16x32_fp8_fp8 v[12:15], a[188:189], a[28:29], v[12:15]// 000000008840: D3F3000C 1C3239BC
	v_mfma_f32_16x16x32_fp8_fp8 v[12:15], a[190:191], a[30:31], v[12:15]// 000000008848: D3F3000C 1C323DBE
	ds_read_b128 a[8:11], v2 offset:512                        // 000000008850: DBFE0200 08000002
	ds_read_b128 a[12:15], v2 offset:576                       // 000000008858: DBFE0240 0C000002
	v_fma_f32 v152, v8, v4, v152                               // 000000008860: D1CB0098 06620908
	v_fma_f32 v153, v9, v4, v153                               // 000000008868: D1CB0099 06660909
	v_fma_f32 v154, v10, v4, v154                              // 000000008870: D1CB009A 066A090A
	v_fma_f32 v155, v11, v4, v155                              // 000000008878: D1CB009B 066E090B
	v_mul_f32_dpp v6, v29, v39 row_newbcast:1 row_mask:0xf bank_mask:0xf// 000000008880: 0A0C4EFA FF01511D
	v_mfma_f32_16x16x32_fp8_fp8 v[8:11], a[192:193], a[24:25], 0// 000000008888: D3F30008 1A0231C0
	v_mfma_f32_16x16x32_fp8_fp8 v[8:11], a[194:195], a[26:27], v[8:11]// 000000008890: D3F30008 1C2235C2
	buffer_load_dwordx4 a[120:123], v49, s[84:87], 0 offen     // 000000008898: E05C1000 80957831
	v_mfma_f32_16x16x32_fp8_fp8 v[8:11], a[196:197], a[28:29], v[8:11]// 0000000088A0: D3F30008 1C2239C4
	v_mfma_f32_16x16x32_fp8_fp8 v[8:11], a[198:199], a[30:31], v[8:11]// 0000000088A8: D3F30008 1C223DC6
	ds_read_b128 a[16:19], v2 offset:1024                      // 0000000088B0: DBFE0400 10000002
	ds_read_b128 a[20:23], v2 offset:1088                      // 0000000088B8: DBFE0440 14000002
	v_fma_f32 v164, v12, v4, v164                              // 0000000088C0: D1CB00A4 0692090C
	v_fma_f32 v165, v13, v4, v165                              // 0000000088C8: D1CB00A5 0696090D
	v_fma_f32 v166, v14, v4, v166                              // 0000000088D0: D1CB00A6 069A090E
	v_fma_f32 v167, v15, v4, v167                              // 0000000088D8: D1CB00A7 069E090F
	v_mfma_f32_16x16x32_fp8_fp8 v[12:15], a[200:201], a[24:25], 0// 0000000088E0: D3F3000C 1A0231C8
	v_mfma_f32_16x16x32_fp8_fp8 v[12:15], a[202:203], a[26:27], v[12:15]// 0000000088E8: D3F3000C 1C3235CA
	buffer_load_dwordx4 a[124:127], v49, s[84:87], 0 offen offset:1024// 0000000088F0: E05C1400 80957C31
	v_mfma_f32_16x16x32_fp8_fp8 v[12:15], a[204:205], a[28:29], v[12:15]// 0000000088F8: D3F3000C 1C3239CC
	v_mfma_f32_16x16x32_fp8_fp8 v[12:15], a[206:207], a[30:31], v[12:15]// 000000008900: D3F3000C 1C323DCE
	v_fma_f32 v176, v8, v6, v176                               // 000000008908: D1CB00B0 06C20D08
	v_fma_f32 v177, v9, v6, v177                               // 000000008910: D1CB00B1 06C60D09
	v_fma_f32 v178, v10, v6, v178                              // 000000008918: D1CB00B2 06CA0D0A
	v_fma_f32 v179, v11, v6, v179                              // 000000008920: D1CB00B3 06CE0D0B
	v_mul_f32_dpp v4, v29, v39 row_newbcast:2 row_mask:0xf bank_mask:0xf// 000000008928: 0A084EFA FF01521D
	v_mfma_f32_16x16x32_fp8_fp8 v[8:11], a[208:209], a[24:25], 0// 000000008930: D3F30008 1A0231D0
	v_mfma_f32_16x16x32_fp8_fp8 v[8:11], a[210:211], a[26:27], v[8:11]// 000000008938: D3F30008 1C2235D2
	buffer_load_dwordx4 a[128:131], v50, s[84:87], 0 offen     // 000000008940: E05C1000 80958032
	v_mfma_f32_16x16x32_fp8_fp8 v[8:11], a[212:213], a[28:29], v[8:11]// 000000008948: D3F30008 1C2239D4
	v_mfma_f32_16x16x32_fp8_fp8 v[8:11], a[214:215], a[30:31], v[8:11]// 000000008950: D3F30008 1C223DD6
	v_fma_f32 v188, v12, v6, v188                              // 000000008958: D1CB00BC 06F20D0C
	v_fma_f32 v189, v13, v6, v189                              // 000000008960: D1CB00BD 06F60D0D
	v_fma_f32 v190, v14, v6, v190                              // 000000008968: D1CB00BE 06FA0D0E
	v_fma_f32 v191, v15, v6, v191                              // 000000008970: D1CB00BF 06FE0D0F
	v_mfma_f32_16x16x32_fp8_fp8 v[12:15], a[216:217], a[24:25], 0// 000000008978: D3F3000C 1A0231D8
	v_mfma_f32_16x16x32_fp8_fp8 v[12:15], a[218:219], a[26:27], v[12:15]// 000000008980: D3F3000C 1C3235DA
	buffer_load_dwordx4 a[132:135], v50, s[84:87], 0 offen offset:1024// 000000008988: E05C1400 80958432
	v_mfma_f32_16x16x32_fp8_fp8 v[12:15], a[220:221], a[28:29], v[12:15]// 000000008990: D3F3000C 1C3239DC
	v_mfma_f32_16x16x32_fp8_fp8 v[12:15], a[222:223], a[30:31], v[12:15]// 000000008998: D3F3000C 1C323DDE
	v_fma_f32 v200, v8, v4, v200                               // 0000000089A0: D1CB00C8 07220908
	v_fma_f32 v201, v9, v4, v201                               // 0000000089A8: D1CB00C9 07260909
	v_fma_f32 v202, v10, v4, v202                              // 0000000089B0: D1CB00CA 072A090A
	v_fma_f32 v203, v11, v4, v203                              // 0000000089B8: D1CB00CB 072E090B
	v_mul_f32_dpp v6, v29, v39 row_newbcast:3 row_mask:0xf bank_mask:0xf// 0000000089C0: 0A0C4EFA FF01531D
	v_mfma_f32_16x16x32_fp8_fp8 v[8:11], a[224:225], a[24:25], 0// 0000000089C8: D3F30008 1A0231E0
	v_mfma_f32_16x16x32_fp8_fp8 v[8:11], a[226:227], a[26:27], v[8:11]// 0000000089D0: D3F30008 1C2235E2
	buffer_load_dwordx4 a[136:139], v51, s[84:87], 0 offen     // 0000000089D8: E05C1000 80958833
	v_mfma_f32_16x16x32_fp8_fp8 v[8:11], a[228:229], a[28:29], v[8:11]// 0000000089E0: D3F30008 1C2239E4
	v_mfma_f32_16x16x32_fp8_fp8 v[8:11], a[230:231], a[30:31], v[8:11]// 0000000089E8: D3F30008 1C223DE6
	v_fma_f32 v212, v12, v4, v212                              // 0000000089F0: D1CB00D4 0752090C
	v_fma_f32 v213, v13, v4, v213                              // 0000000089F8: D1CB00D5 0756090D
	v_fma_f32 v214, v14, v4, v214                              // 000000008A00: D1CB00D6 075A090E
	v_fma_f32 v215, v15, v4, v215                              // 000000008A08: D1CB00D7 075E090F
	v_mfma_f32_16x16x32_fp8_fp8 v[12:15], a[232:233], a[24:25], 0// 000000008A10: D3F3000C 1A0231E8
	v_mfma_f32_16x16x32_fp8_fp8 v[12:15], a[234:235], a[26:27], v[12:15]// 000000008A18: D3F3000C 1C3235EA
	buffer_load_dwordx4 a[140:143], v51, s[84:87], 0 offen offset:1024// 000000008A20: E05C1400 80958C33
	v_mfma_f32_16x16x32_fp8_fp8 v[12:15], a[236:237], a[28:29], v[12:15]// 000000008A28: D3F3000C 1C3239EC
	v_mfma_f32_16x16x32_fp8_fp8 v[12:15], a[238:239], a[30:31], v[12:15]// 000000008A30: D3F3000C 1C323DEE
	v_fma_f32 v224, v8, v6, v224                               // 000000008A38: D1CB00E0 07820D08
	v_fma_f32 v225, v9, v6, v225                               // 000000008A40: D1CB00E1 07860D09
	v_fma_f32 v226, v10, v6, v226                              // 000000008A48: D1CB00E2 078A0D0A
	v_fma_f32 v227, v11, v6, v227                              // 000000008A50: D1CB00E3 078E0D0B
	v_mul_f32_dpp v4, v29, v40 row_newbcast:0 row_mask:0xf bank_mask:0xf// 000000008A58: 0A0850FA FF01501D
	v_mfma_f32_16x16x32_fp8_fp8 v[8:11], a[176:177], a[32:33], 0// 000000008A60: D3F30008 1A0241B0
	v_mfma_f32_16x16x32_fp8_fp8 v[8:11], a[178:179], a[34:35], v[8:11]// 000000008A68: D3F30008 1C2245B2
	buffer_load_dwordx4 a[144:147], v52, s[84:87], 0 offen     // 000000008A70: E05C1000 80959034
	v_mfma_f32_16x16x32_fp8_fp8 v[8:11], a[180:181], a[36:37], v[8:11]// 000000008A78: D3F30008 1C2249B4
	v_mfma_f32_16x16x32_fp8_fp8 v[8:11], a[182:183], a[38:39], v[8:11]// 000000008A80: D3F30008 1C224DB6
	v_fma_f32 v236, v12, v6, v236                              // 000000008A88: D1CB00EC 07B20D0C
	v_fma_f32 v237, v13, v6, v237                              // 000000008A90: D1CB00ED 07B60D0D
	v_fma_f32 v238, v14, v6, v238                              // 000000008A98: D1CB00EE 07BA0D0E
	v_fma_f32 v239, v15, v6, v239                              // 000000008AA0: D1CB00EF 07BE0D0F
	v_mfma_f32_16x16x32_fp8_fp8 v[12:15], a[184:185], a[32:33], 0// 000000008AA8: D3F3000C 1A0241B8
	v_mfma_f32_16x16x32_fp8_fp8 v[12:15], a[186:187], a[34:35], v[12:15]// 000000008AB0: D3F3000C 1C3245BA
	buffer_load_dwordx4 a[148:151], v52, s[84:87], 0 offen offset:1024// 000000008AB8: E05C1400 80959434
	v_mfma_f32_16x16x32_fp8_fp8 v[12:15], a[188:189], a[36:37], v[12:15]// 000000008AC0: D3F3000C 1C3249BC
	v_mfma_f32_16x16x32_fp8_fp8 v[12:15], a[190:191], a[38:39], v[12:15]// 000000008AC8: D3F3000C 1C324DBE
	v_fma_f32 v156, v8, v4, v156                               // 000000008AD0: D1CB009C 06720908
	v_fma_f32 v157, v9, v4, v157                               // 000000008AD8: D1CB009D 06760909
	v_fma_f32 v158, v10, v4, v158                              // 000000008AE0: D1CB009E 067A090A
	v_fma_f32 v159, v11, v4, v159                              // 000000008AE8: D1CB009F 067E090B
	v_mul_f32_dpp v6, v29, v40 row_newbcast:1 row_mask:0xf bank_mask:0xf// 000000008AF0: 0A0C50FA FF01511D
	v_mfma_f32_16x16x32_fp8_fp8 v[8:11], a[192:193], a[32:33], 0// 000000008AF8: D3F30008 1A0241C0
	v_mfma_f32_16x16x32_fp8_fp8 v[8:11], a[194:195], a[34:35], v[8:11]// 000000008B00: D3F30008 1C2245C2
	buffer_load_dwordx4 a[152:155], v53, s[84:87], 0 offen     // 000000008B08: E05C1000 80959835
	v_mfma_f32_16x16x32_fp8_fp8 v[8:11], a[196:197], a[36:37], v[8:11]// 000000008B10: D3F30008 1C2249C4
	v_mfma_f32_16x16x32_fp8_fp8 v[8:11], a[198:199], a[38:39], v[8:11]// 000000008B18: D3F30008 1C224DC6
	v_fma_f32 v168, v12, v4, v168                              // 000000008B20: D1CB00A8 06A2090C
	v_fma_f32 v169, v13, v4, v169                              // 000000008B28: D1CB00A9 06A6090D
	v_fma_f32 v170, v14, v4, v170                              // 000000008B30: D1CB00AA 06AA090E
	v_fma_f32 v171, v15, v4, v171                              // 000000008B38: D1CB00AB 06AE090F
	v_mfma_f32_16x16x32_fp8_fp8 v[12:15], a[200:201], a[32:33], 0// 000000008B40: D3F3000C 1A0241C8
	v_mfma_f32_16x16x32_fp8_fp8 v[12:15], a[202:203], a[34:35], v[12:15]// 000000008B48: D3F3000C 1C3245CA
	buffer_load_dwordx4 a[156:159], v53, s[84:87], 0 offen offset:1024// 000000008B50: E05C1400 80959C35
	v_mfma_f32_16x16x32_fp8_fp8 v[12:15], a[204:205], a[36:37], v[12:15]// 000000008B58: D3F3000C 1C3249CC
	v_mfma_f32_16x16x32_fp8_fp8 v[12:15], a[206:207], a[38:39], v[12:15]// 000000008B60: D3F3000C 1C324DCE
	v_fma_f32 v180, v8, v6, v180                               // 000000008B68: D1CB00B4 06D20D08
	v_fma_f32 v181, v9, v6, v181                               // 000000008B70: D1CB00B5 06D60D09
	v_fma_f32 v182, v10, v6, v182                              // 000000008B78: D1CB00B6 06DA0D0A
	v_fma_f32 v183, v11, v6, v183                              // 000000008B80: D1CB00B7 06DE0D0B
	v_mul_f32_dpp v4, v29, v40 row_newbcast:2 row_mask:0xf bank_mask:0xf// 000000008B88: 0A0850FA FF01521D
	v_mfma_f32_16x16x32_fp8_fp8 v[8:11], a[208:209], a[32:33], 0// 000000008B90: D3F30008 1A0241D0
	v_mfma_f32_16x16x32_fp8_fp8 v[8:11], a[210:211], a[34:35], v[8:11]// 000000008B98: D3F30008 1C2245D2
	buffer_load_dwordx4 a[160:163], v54, s[84:87], 0 offen     // 000000008BA0: E05C1000 8095A036
	v_mfma_f32_16x16x32_fp8_fp8 v[8:11], a[212:213], a[36:37], v[8:11]// 000000008BA8: D3F30008 1C2249D4
	v_mfma_f32_16x16x32_fp8_fp8 v[8:11], a[214:215], a[38:39], v[8:11]// 000000008BB0: D3F30008 1C224DD6
	v_fma_f32 v192, v12, v6, v192                              // 000000008BB8: D1CB00C0 07020D0C
	v_fma_f32 v193, v13, v6, v193                              // 000000008BC0: D1CB00C1 07060D0D
	v_fma_f32 v194, v14, v6, v194                              // 000000008BC8: D1CB00C2 070A0D0E
	v_fma_f32 v195, v15, v6, v195                              // 000000008BD0: D1CB00C3 070E0D0F
	v_mfma_f32_16x16x32_fp8_fp8 v[12:15], a[216:217], a[32:33], 0// 000000008BD8: D3F3000C 1A0241D8
	v_mfma_f32_16x16x32_fp8_fp8 v[12:15], a[218:219], a[34:35], v[12:15]// 000000008BE0: D3F3000C 1C3245DA
	buffer_load_dwordx4 a[164:167], v54, s[84:87], 0 offen offset:1024// 000000008BE8: E05C1400 8095A436
	v_mfma_f32_16x16x32_fp8_fp8 v[12:15], a[220:221], a[36:37], v[12:15]// 000000008BF0: D3F3000C 1C3249DC
	v_mfma_f32_16x16x32_fp8_fp8 v[12:15], a[222:223], a[38:39], v[12:15]// 000000008BF8: D3F3000C 1C324DDE
	v_fma_f32 v204, v8, v4, v204                               // 000000008C00: D1CB00CC 07320908
	v_fma_f32 v205, v9, v4, v205                               // 000000008C08: D1CB00CD 07360909
	v_fma_f32 v206, v10, v4, v206                              // 000000008C10: D1CB00CE 073A090A
	v_fma_f32 v207, v11, v4, v207                              // 000000008C18: D1CB00CF 073E090B
	v_mul_f32_dpp v6, v29, v40 row_newbcast:3 row_mask:0xf bank_mask:0xf// 000000008C20: 0A0C50FA FF01531D
	v_mfma_f32_16x16x32_fp8_fp8 v[8:11], a[224:225], a[32:33], 0// 000000008C28: D3F30008 1A0241E0
	v_mfma_f32_16x16x32_fp8_fp8 v[8:11], a[226:227], a[34:35], v[8:11]// 000000008C30: D3F30008 1C2245E2
	buffer_load_dwordx4 a[168:171], v55, s[84:87], 0 offen     // 000000008C38: E05C1000 8095A837
	v_mfma_f32_16x16x32_fp8_fp8 v[8:11], a[228:229], a[36:37], v[8:11]// 000000008C40: D3F30008 1C2249E4
	v_mfma_f32_16x16x32_fp8_fp8 v[8:11], a[230:231], a[38:39], v[8:11]// 000000008C48: D3F30008 1C224DE6
	v_fma_f32 v216, v12, v4, v216                              // 000000008C50: D1CB00D8 0762090C
	v_fma_f32 v217, v13, v4, v217                              // 000000008C58: D1CB00D9 0766090D
	v_fma_f32 v218, v14, v4, v218                              // 000000008C60: D1CB00DA 076A090E
	v_fma_f32 v219, v15, v4, v219                              // 000000008C68: D1CB00DB 076E090F
	v_mfma_f32_16x16x32_fp8_fp8 v[12:15], a[232:233], a[32:33], 0// 000000008C70: D3F3000C 1A0241E8
	v_mfma_f32_16x16x32_fp8_fp8 v[12:15], a[234:235], a[34:35], v[12:15]// 000000008C78: D3F3000C 1C3245EA
	buffer_load_dwordx4 a[172:175], v55, s[84:87], 0 offen offset:1024// 000000008C80: E05C1400 8095AC37
	v_mfma_f32_16x16x32_fp8_fp8 v[12:15], a[236:237], a[36:37], v[12:15]// 000000008C88: D3F3000C 1C3249EC
	v_mfma_f32_16x16x32_fp8_fp8 v[12:15], a[238:239], a[38:39], v[12:15]// 000000008C90: D3F3000C 1C324DEE
	v_fma_f32 v228, v8, v6, v228                               // 000000008C98: D1CB00E4 07920D08
	v_fma_f32 v229, v9, v6, v229                               // 000000008CA0: D1CB00E5 07960D09
	v_fma_f32 v230, v10, v6, v230                              // 000000008CA8: D1CB00E6 079A0D0A
	v_fma_f32 v231, v11, v6, v231                              // 000000008CB0: D1CB00E7 079E0D0B
	v_mul_f32_dpp v4, v29, v41 row_newbcast:0 row_mask:0xf bank_mask:0xf// 000000008CB8: 0A0852FA FF01501D
	v_mfma_f32_16x16x32_fp8_fp8 v[8:11], a[176:177], a[40:41], 0// 000000008CC0: D3F30008 1A0251B0
	v_mfma_f32_16x16x32_fp8_fp8 v[8:11], a[178:179], a[42:43], v[8:11]// 000000008CC8: D3F30008 1C2255B2
	v_mfma_f32_16x16x32_fp8_fp8 v[8:11], a[180:181], a[44:45], v[8:11]// 000000008CD0: D3F30008 1C2259B4
	v_mfma_f32_16x16x32_fp8_fp8 v[8:11], a[182:183], a[46:47], v[8:11]// 000000008CD8: D3F30008 1C225DB6
	v_fma_f32 v240, v12, v6, v240                              // 000000008CE0: D1CB00F0 07C20D0C
	v_fma_f32 v241, v13, v6, v241                              // 000000008CE8: D1CB00F1 07C60D0D
	v_fma_f32 v242, v14, v6, v242                              // 000000008CF0: D1CB00F2 07CA0D0E
	v_fma_f32 v243, v15, v6, v243                              // 000000008CF8: D1CB00F3 07CE0D0F
	v_mfma_f32_16x16x32_fp8_fp8 v[12:15], a[184:185], a[40:41], 0// 000000008D00: D3F3000C 1A0251B8
	v_mfma_f32_16x16x32_fp8_fp8 v[12:15], a[186:187], a[42:43], v[12:15]// 000000008D08: D3F3000C 1C3255BA
	v_mfma_f32_16x16x32_fp8_fp8 v[12:15], a[188:189], a[44:45], v[12:15]// 000000008D10: D3F3000C 1C3259BC
	v_mfma_f32_16x16x32_fp8_fp8 v[12:15], a[190:191], a[46:47], v[12:15]// 000000008D18: D3F3000C 1C325DBE
	v_fma_f32 v160, v8, v4, v160                               // 000000008D20: D1CB00A0 06820908
	v_fma_f32 v161, v9, v4, v161                               // 000000008D28: D1CB00A1 06860909
	v_fma_f32 v162, v10, v4, v162                              // 000000008D30: D1CB00A2 068A090A
	v_fma_f32 v163, v11, v4, v163                              // 000000008D38: D1CB00A3 068E090B
	v_mul_f32_dpp v6, v29, v41 row_newbcast:1 row_mask:0xf bank_mask:0xf// 000000008D40: 0A0C52FA FF01511D
	v_mfma_f32_16x16x32_fp8_fp8 v[8:11], a[192:193], a[40:41], 0// 000000008D48: D3F30008 1A0251C0
	v_mfma_f32_16x16x32_fp8_fp8 v[8:11], a[194:195], a[42:43], v[8:11]// 000000008D50: D3F30008 1C2255C2
	v_mfma_f32_16x16x32_fp8_fp8 v[8:11], a[196:197], a[44:45], v[8:11]// 000000008D58: D3F30008 1C2259C4
	v_mfma_f32_16x16x32_fp8_fp8 v[8:11], a[198:199], a[46:47], v[8:11]// 000000008D60: D3F30008 1C225DC6
	v_fma_f32 v172, v12, v4, v172                              // 000000008D68: D1CB00AC 06B2090C
	v_fma_f32 v173, v13, v4, v173                              // 000000008D70: D1CB00AD 06B6090D
	v_fma_f32 v174, v14, v4, v174                              // 000000008D78: D1CB00AE 06BA090E
	v_fma_f32 v175, v15, v4, v175                              // 000000008D80: D1CB00AF 06BE090F
	v_mfma_f32_16x16x32_fp8_fp8 v[12:15], a[200:201], a[40:41], 0// 000000008D88: D3F3000C 1A0251C8
	v_mfma_f32_16x16x32_fp8_fp8 v[12:15], a[202:203], a[42:43], v[12:15]// 000000008D90: D3F3000C 1C3255CA
	v_mfma_f32_16x16x32_fp8_fp8 v[12:15], a[204:205], a[44:45], v[12:15]// 000000008D98: D3F3000C 1C3259CC
	v_mfma_f32_16x16x32_fp8_fp8 v[12:15], a[206:207], a[46:47], v[12:15]// 000000008DA0: D3F3000C 1C325DCE
	v_fma_f32 v184, v8, v6, v184                               // 000000008DA8: D1CB00B8 06E20D08
	v_fma_f32 v185, v9, v6, v185                               // 000000008DB0: D1CB00B9 06E60D09
	v_fma_f32 v186, v10, v6, v186                              // 000000008DB8: D1CB00BA 06EA0D0A
	v_fma_f32 v187, v11, v6, v187                              // 000000008DC0: D1CB00BB 06EE0D0B
	v_mul_f32_dpp v4, v29, v41 row_newbcast:2 row_mask:0xf bank_mask:0xf// 000000008DC8: 0A0852FA FF01521D
	v_mfma_f32_16x16x32_fp8_fp8 v[8:11], a[208:209], a[40:41], 0// 000000008DD0: D3F30008 1A0251D0
	v_mfma_f32_16x16x32_fp8_fp8 v[8:11], a[210:211], a[42:43], v[8:11]// 000000008DD8: D3F30008 1C2255D2
	v_mfma_f32_16x16x32_fp8_fp8 v[8:11], a[212:213], a[44:45], v[8:11]// 000000008DE0: D3F30008 1C2259D4
	v_mfma_f32_16x16x32_fp8_fp8 v[8:11], a[214:215], a[46:47], v[8:11]// 000000008DE8: D3F30008 1C225DD6
	v_fma_f32 v196, v12, v6, v196                              // 000000008DF0: D1CB00C4 07120D0C
	v_fma_f32 v197, v13, v6, v197                              // 000000008DF8: D1CB00C5 07160D0D
	v_fma_f32 v198, v14, v6, v198                              // 000000008E00: D1CB00C6 071A0D0E
	v_fma_f32 v199, v15, v6, v199                              // 000000008E08: D1CB00C7 071E0D0F
	v_mfma_f32_16x16x32_fp8_fp8 v[12:15], a[216:217], a[40:41], 0// 000000008E10: D3F3000C 1A0251D8
	v_mfma_f32_16x16x32_fp8_fp8 v[12:15], a[218:219], a[42:43], v[12:15]// 000000008E18: D3F3000C 1C3255DA
	v_mfma_f32_16x16x32_fp8_fp8 v[12:15], a[220:221], a[44:45], v[12:15]// 000000008E20: D3F3000C 1C3259DC
	v_mfma_f32_16x16x32_fp8_fp8 v[12:15], a[222:223], a[46:47], v[12:15]// 000000008E28: D3F3000C 1C325DDE
	v_fma_f32 v208, v8, v4, v208                               // 000000008E30: D1CB00D0 07420908
	v_fma_f32 v209, v9, v4, v209                               // 000000008E38: D1CB00D1 07460909
	v_fma_f32 v210, v10, v4, v210                              // 000000008E40: D1CB00D2 074A090A
	v_fma_f32 v211, v11, v4, v211                              // 000000008E48: D1CB00D3 074E090B
	v_mul_f32_dpp v6, v29, v41 row_newbcast:3 row_mask:0xf bank_mask:0xf// 000000008E50: 0A0C52FA FF01531D
	v_mfma_f32_16x16x32_fp8_fp8 v[8:11], a[224:225], a[40:41], 0// 000000008E58: D3F30008 1A0251E0
	s_add_u32 s60, 0x180, s80                                  // 000000008E60: 803C50FF 00000180
	s_cmp_lt_u32 s60, s81                                      // 000000008E68: BF0A513C
	s_cselect_b32 s57, s57, 0                                  // 000000008E6C: 85398039
	s_cselect_b32 s3, s3, 0                                    // 000000008E70: 85038003
	v_mfma_f32_16x16x32_fp8_fp8 v[8:11], a[226:227], a[42:43], v[8:11]// 000000008E74: D3F30008 1C2255E2
	s_add_u32 s60, 0x100, s80                                  // 000000008E7C: 803C50FF 00000100
	s_cmp_lt_u32 s60, s81                                      // 000000008E84: BF0A513C
	s_cselect_b32 s58, s58, 0                                  // 000000008E88: 853A803A
	v_mfma_f32_16x16x32_fp8_fp8 v[8:11], a[228:229], a[44:45], v[8:11]// 000000008E8C: D3F30008 1C2259E4
	s_add_u32 s60, 0x100, s80                                  // 000000008E94: 803C50FF 00000100
	s_cmp_lt_u32 s60, s81                                      // 000000008E9C: BF0A513C
	s_cselect_b32 s83, s83, 0                                  // 000000008EA0: 85538053
	s_cselect_b32 s4, s4, 0                                    // 000000008EA4: 85048004
	v_mfma_f32_16x16x32_fp8_fp8 v[8:11], a[230:231], a[46:47], v[8:11]// 000000008EA8: D3F30008 1C225DE6
	s_add_u32 s24, s58, s24                                    // 000000008EB0: 8018183A
	s_addc_u32 s25, 0, s25                                     // 000000008EB4: 82191980
	v_fma_f32 v220, v12, v4, v220                              // 000000008EB8: D1CB00DC 0772090C
	v_fma_f32 v221, v13, v4, v221                              // 000000008EC0: D1CB00DD 0776090D
	v_fma_f32 v222, v14, v4, v222                              // 000000008EC8: D1CB00DE 077A090E
	v_fma_f32 v223, v15, v4, v223                              // 000000008ED0: D1CB00DF 077E090F
	v_mfma_f32_16x16x32_fp8_fp8 v[12:15], a[232:233], a[40:41], 0// 000000008ED8: D3F3000C 1A0251E8
	s_add_u32 s20, s57, s20                                    // 000000008EE0: 80141439
	s_addc_u32 s21, 0, s21                                     // 000000008EE4: 82151580
	s_add_u32 s28, s3, s28                                     // 000000008EE8: 801C1C03
	s_addc_u32 s29, 0, s29                                     // 000000008EEC: 821D1D80
	v_mfma_f32_16x16x32_fp8_fp8 v[12:15], a[234:235], a[42:43], v[12:15]// 000000008EF0: D3F3000C 1C3255EA
	s_add_u32 s84, s83, s84                                    // 000000008EF8: 80545453
	s_addc_u32 s85, 0, s85                                     // 000000008EFC: 82555580
	v_mfma_f32_16x16x32_fp8_fp8 v[12:15], a[236:237], a[44:45], v[12:15]// 000000008F00: D3F3000C 1C3259EC
	s_add_u32 s32, s4, s32                                     // 000000008F08: 80202004
	s_addc_u32 s33, 0, s33                                     // 000000008F0C: 82212180
	v_mfma_f32_16x16x32_fp8_fp8 v[12:15], a[238:239], a[46:47], v[12:15]// 000000008F10: D3F3000C 1C325DEE
	v_fma_f32 v232, v8, v6, v232                               // 000000008F18: D1CB00E8 07A20D08
	v_fma_f32 v233, v9, v6, v233                               // 000000008F20: D1CB00E9 07A60D09
	v_fma_f32 v234, v10, v6, v234                              // 000000008F28: D1CB00EA 07AA0D0A
	v_fma_f32 v235, v11, v6, v235                              // 000000008F30: D1CB00EB 07AE0D0B
	v_fma_f32 v244, v12, v6, v244                              // 000000008F38: D1CB00F4 07D20D0C
	v_fma_f32 v245, v13, v6, v245                              // 000000008F40: D1CB00F5 07D60D0D
	v_fma_f32 v246, v14, v6, v246                              // 000000008F48: D1CB00F6 07DA0D0E
	v_fma_f32 v247, v15, v6, v247                              // 000000008F50: D1CB00F7 07DE0D0F
	s_addk_i32 s80, 0x80                                       // 000000008F58: B7500080
	s_cmp_lt_i32 s80, s81                                      // 000000008F5C: BF045150
	s_cbranch_scc0 label_195A                                  // 000000008F60: BF840001
	s_branch label_02F7                                        // 000000008F64: BF82E99D

0000000000008f68 <label_195A>:
	s_cmp_eq_u32 s88, 0                                        // 000000008F68: BF068058
	s_cbranch_scc0 label_262B                                  // 000000008F6C: BF840CCF
	s_cmp_eq_u32 s89, 0                                        // 000000008F70: BF068059
	s_cbranch_scc1 label_1D23                                  // 000000008F74: BF8503C5
	v_mov_b32_e32 v8, v1                                       // 000000008F78: 7E100301
	v_mov_b32_e32 v9, v1                                       // 000000008F7C: 7E120301
	s_mov_b32 s60, s6                                          // 000000008F80: BEBC0006
	s_mov_b32 s61, s6                                          // 000000008F84: BEBD0006
	v_pk_mul_f32 v[4:5], v[56:57], v[56:57]                    // 000000008F88: D3B14004 18027138
	v_pk_mul_f32 v[6:7], v[58:59], v[58:59]                    // 000000008F90: D3B14006 1802753A
	v_pk_fma_f32 v[4:5], v[4:5], s[78:79], v[8:9]              // 000000008F98: D3B04004 1C209D04
	v_pk_fma_f32 v[6:7], v[6:7], s[78:79], v[8:9]              // 000000008FA0: D3B04006 1C209D06
	v_pk_mul_f32 v[4:5], v[4:5], v[56:57]                      // 000000008FA8: D3B14004 18027104
	v_pk_mul_f32 v[6:7], v[6:7], v[58:59]                      // 000000008FB0: D3B14006 18027506
	v_pk_mul_f32 v[4:5], v[4:5], s[60:61]                      // 000000008FB8: D3B14004 18007904
	v_pk_mul_f32 v[6:7], v[6:7], s[60:61]                      // 000000008FC0: D3B14006 18007906
	v_exp_f32_e32 v4, v4                                       // 000000008FC8: 7E084104
	v_exp_f32_e32 v5, v5                                       // 000000008FCC: 7E0A4105
	v_exp_f32_e32 v6, v6                                       // 000000008FD0: 7E0C4106
	v_exp_f32_e32 v7, v7                                       // 000000008FD4: 7E0E4107
	v_add_f32_e64 v4, v4, 1.0                                  // 000000008FD8: D1010004 0001E504
	v_add_f32_e64 v5, v5, 1.0                                  // 000000008FE0: D1010005 0001E505
	v_add_f32_e64 v6, v6, 1.0                                  // 000000008FE8: D1010006 0001E506
	v_add_f32_e64 v7, v7, 1.0                                  // 000000008FF0: D1010007 0001E507
	v_rcp_f32_e32 v4, v4                                       // 000000008FF8: 7E084504
	v_rcp_f32_e32 v5, v5                                       // 000000008FFC: 7E0A4505
	v_rcp_f32_e32 v6, v6                                       // 000000009000: 7E0C4506
	v_rcp_f32_e32 v7, v7                                       // 000000009004: 7E0E4507
	v_mul_f32_e32 v56, v56, v4                                 // 000000009008: 0A700938
	v_mul_f32_e32 v57, v57, v5                                 // 00000000900C: 0A720B39
	v_mul_f32_e32 v58, v58, v6                                 // 000000009010: 0A740D3A
	v_mul_f32_e32 v59, v59, v7                                 // 000000009014: 0A760F3B
	v_mul_f32_e32 v56, v56, v152                               // 000000009018: 0A713138
	v_mul_f32_e32 v57, v57, v153                               // 00000000901C: 0A733339
	v_mul_f32_e32 v58, v58, v154                               // 000000009020: 0A75353A
	v_mul_f32_e32 v59, v59, v155                               // 000000009024: 0A77373B
	v_pk_mul_f32 v[4:5], v[60:61], v[60:61]                    // 000000009028: D3B14004 1802793C
	v_pk_mul_f32 v[6:7], v[62:63], v[62:63]                    // 000000009030: D3B14006 18027D3E
	v_pk_fma_f32 v[4:5], v[4:5], s[78:79], v[8:9]              // 000000009038: D3B04004 1C209D04
	v_pk_fma_f32 v[6:7], v[6:7], s[78:79], v[8:9]              // 000000009040: D3B04006 1C209D06
	v_pk_mul_f32 v[4:5], v[4:5], v[60:61]                      // 000000009048: D3B14004 18027904
	v_pk_mul_f32 v[6:7], v[6:7], v[62:63]                      // 000000009050: D3B14006 18027D06
	v_pk_mul_f32 v[4:5], v[4:5], s[60:61]                      // 000000009058: D3B14004 18007904
	v_pk_mul_f32 v[6:7], v[6:7], s[60:61]                      // 000000009060: D3B14006 18007906
	v_exp_f32_e32 v4, v4                                       // 000000009068: 7E084104
	v_exp_f32_e32 v5, v5                                       // 00000000906C: 7E0A4105
	v_exp_f32_e32 v6, v6                                       // 000000009070: 7E0C4106
	v_exp_f32_e32 v7, v7                                       // 000000009074: 7E0E4107
	v_add_f32_e64 v4, v4, 1.0                                  // 000000009078: D1010004 0001E504
	v_add_f32_e64 v5, v5, 1.0                                  // 000000009080: D1010005 0001E505
	v_add_f32_e64 v6, v6, 1.0                                  // 000000009088: D1010006 0001E506
	v_add_f32_e64 v7, v7, 1.0                                  // 000000009090: D1010007 0001E507
	v_rcp_f32_e32 v4, v4                                       // 000000009098: 7E084504
	v_rcp_f32_e32 v5, v5                                       // 00000000909C: 7E0A4505
	v_rcp_f32_e32 v6, v6                                       // 0000000090A0: 7E0C4506
	v_rcp_f32_e32 v7, v7                                       // 0000000090A4: 7E0E4507
	v_mul_f32_e32 v60, v60, v4                                 // 0000000090A8: 0A78093C
	v_mul_f32_e32 v61, v61, v5                                 // 0000000090AC: 0A7A0B3D
	v_mul_f32_e32 v62, v62, v6                                 // 0000000090B0: 0A7C0D3E
	v_mul_f32_e32 v63, v63, v7                                 // 0000000090B4: 0A7E0F3F
	v_mul_f32_e32 v60, v60, v156                               // 0000000090B8: 0A79393C
	v_mul_f32_e32 v61, v61, v157                               // 0000000090BC: 0A7B3B3D
	v_mul_f32_e32 v62, v62, v158                               // 0000000090C0: 0A7D3D3E
	v_mul_f32_e32 v63, v63, v159                               // 0000000090C4: 0A7F3F3F
	v_pk_mul_f32 v[4:5], v[64:65], v[64:65]                    // 0000000090C8: D3B14004 18028140
	v_pk_mul_f32 v[6:7], v[66:67], v[66:67]                    // 0000000090D0: D3B14006 18028542
	v_pk_fma_f32 v[4:5], v[4:5], s[78:79], v[8:9]              // 0000000090D8: D3B04004 1C209D04
	v_pk_fma_f32 v[6:7], v[6:7], s[78:79], v[8:9]              // 0000000090E0: D3B04006 1C209D06
	v_pk_mul_f32 v[4:5], v[4:5], v[64:65]                      // 0000000090E8: D3B14004 18028104
	v_pk_mul_f32 v[6:7], v[6:7], v[66:67]                      // 0000000090F0: D3B14006 18028506
	v_pk_mul_f32 v[4:5], v[4:5], s[60:61]                      // 0000000090F8: D3B14004 18007904
	v_pk_mul_f32 v[6:7], v[6:7], s[60:61]                      // 000000009100: D3B14006 18007906
	v_exp_f32_e32 v4, v4                                       // 000000009108: 7E084104
	v_exp_f32_e32 v5, v5                                       // 00000000910C: 7E0A4105
	v_exp_f32_e32 v6, v6                                       // 000000009110: 7E0C4106
	v_exp_f32_e32 v7, v7                                       // 000000009114: 7E0E4107
	v_add_f32_e64 v4, v4, 1.0                                  // 000000009118: D1010004 0001E504
	v_add_f32_e64 v5, v5, 1.0                                  // 000000009120: D1010005 0001E505
	v_add_f32_e64 v6, v6, 1.0                                  // 000000009128: D1010006 0001E506
	v_add_f32_e64 v7, v7, 1.0                                  // 000000009130: D1010007 0001E507
	v_rcp_f32_e32 v4, v4                                       // 000000009138: 7E084504
	v_rcp_f32_e32 v5, v5                                       // 00000000913C: 7E0A4505
	v_rcp_f32_e32 v6, v6                                       // 000000009140: 7E0C4506
	v_rcp_f32_e32 v7, v7                                       // 000000009144: 7E0E4507
	v_mul_f32_e32 v64, v64, v4                                 // 000000009148: 0A800940
	v_mul_f32_e32 v65, v65, v5                                 // 00000000914C: 0A820B41
	v_mul_f32_e32 v66, v66, v6                                 // 000000009150: 0A840D42
	v_mul_f32_e32 v67, v67, v7                                 // 000000009154: 0A860F43
	v_mul_f32_e32 v64, v64, v160                               // 000000009158: 0A814140
	v_mul_f32_e32 v65, v65, v161                               // 00000000915C: 0A834341
	v_mul_f32_e32 v66, v66, v162                               // 000000009160: 0A854542
	v_mul_f32_e32 v67, v67, v163                               // 000000009164: 0A874743
	v_pk_mul_f32 v[4:5], v[68:69], v[68:69]                    // 000000009168: D3B14004 18028944
	v_pk_mul_f32 v[6:7], v[70:71], v[70:71]                    // 000000009170: D3B14006 18028D46
	v_pk_fma_f32 v[4:5], v[4:5], s[78:79], v[8:9]              // 000000009178: D3B04004 1C209D04
	v_pk_fma_f32 v[6:7], v[6:7], s[78:79], v[8:9]              // 000000009180: D3B04006 1C209D06
	v_pk_mul_f32 v[4:5], v[4:5], v[68:69]                      // 000000009188: D3B14004 18028904
	v_pk_mul_f32 v[6:7], v[6:7], v[70:71]                      // 000000009190: D3B14006 18028D06
	v_pk_mul_f32 v[4:5], v[4:5], s[60:61]                      // 000000009198: D3B14004 18007904
	v_pk_mul_f32 v[6:7], v[6:7], s[60:61]                      // 0000000091A0: D3B14006 18007906
	v_exp_f32_e32 v4, v4                                       // 0000000091A8: 7E084104
	v_exp_f32_e32 v5, v5                                       // 0000000091AC: 7E0A4105
	v_exp_f32_e32 v6, v6                                       // 0000000091B0: 7E0C4106
	v_exp_f32_e32 v7, v7                                       // 0000000091B4: 7E0E4107
	v_add_f32_e64 v4, v4, 1.0                                  // 0000000091B8: D1010004 0001E504
	v_add_f32_e64 v5, v5, 1.0                                  // 0000000091C0: D1010005 0001E505
	v_add_f32_e64 v6, v6, 1.0                                  // 0000000091C8: D1010006 0001E506
	v_add_f32_e64 v7, v7, 1.0                                  // 0000000091D0: D1010007 0001E507
	v_rcp_f32_e32 v4, v4                                       // 0000000091D8: 7E084504
	v_rcp_f32_e32 v5, v5                                       // 0000000091DC: 7E0A4505
	v_rcp_f32_e32 v6, v6                                       // 0000000091E0: 7E0C4506
	v_rcp_f32_e32 v7, v7                                       // 0000000091E4: 7E0E4507
	v_mul_f32_e32 v68, v68, v4                                 // 0000000091E8: 0A880944
	v_mul_f32_e32 v69, v69, v5                                 // 0000000091EC: 0A8A0B45
	v_mul_f32_e32 v70, v70, v6                                 // 0000000091F0: 0A8C0D46
	v_mul_f32_e32 v71, v71, v7                                 // 0000000091F4: 0A8E0F47
	v_mul_f32_e32 v68, v68, v164                               // 0000000091F8: 0A894944
	v_mul_f32_e32 v69, v69, v165                               // 0000000091FC: 0A8B4B45
	v_mul_f32_e32 v70, v70, v166                               // 000000009200: 0A8D4D46
	v_mul_f32_e32 v71, v71, v167                               // 000000009204: 0A8F4F47
	v_pk_mul_f32 v[4:5], v[72:73], v[72:73]                    // 000000009208: D3B14004 18029148
	v_pk_mul_f32 v[6:7], v[74:75], v[74:75]                    // 000000009210: D3B14006 1802954A
	v_pk_fma_f32 v[4:5], v[4:5], s[78:79], v[8:9]              // 000000009218: D3B04004 1C209D04
	v_pk_fma_f32 v[6:7], v[6:7], s[78:79], v[8:9]              // 000000009220: D3B04006 1C209D06
	v_pk_mul_f32 v[4:5], v[4:5], v[72:73]                      // 000000009228: D3B14004 18029104
	v_pk_mul_f32 v[6:7], v[6:7], v[74:75]                      // 000000009230: D3B14006 18029506
	v_pk_mul_f32 v[4:5], v[4:5], s[60:61]                      // 000000009238: D3B14004 18007904
	v_pk_mul_f32 v[6:7], v[6:7], s[60:61]                      // 000000009240: D3B14006 18007906
	v_exp_f32_e32 v4, v4                                       // 000000009248: 7E084104
	v_exp_f32_e32 v5, v5                                       // 00000000924C: 7E0A4105
	v_exp_f32_e32 v6, v6                                       // 000000009250: 7E0C4106
	v_exp_f32_e32 v7, v7                                       // 000000009254: 7E0E4107
	v_add_f32_e64 v4, v4, 1.0                                  // 000000009258: D1010004 0001E504
	v_add_f32_e64 v5, v5, 1.0                                  // 000000009260: D1010005 0001E505
	v_add_f32_e64 v6, v6, 1.0                                  // 000000009268: D1010006 0001E506
	v_add_f32_e64 v7, v7, 1.0                                  // 000000009270: D1010007 0001E507
	v_rcp_f32_e32 v4, v4                                       // 000000009278: 7E084504
	v_rcp_f32_e32 v5, v5                                       // 00000000927C: 7E0A4505
	v_rcp_f32_e32 v6, v6                                       // 000000009280: 7E0C4506
	v_rcp_f32_e32 v7, v7                                       // 000000009284: 7E0E4507
	v_mul_f32_e32 v72, v72, v4                                 // 000000009288: 0A900948
	v_mul_f32_e32 v73, v73, v5                                 // 00000000928C: 0A920B49
	v_mul_f32_e32 v74, v74, v6                                 // 000000009290: 0A940D4A
	v_mul_f32_e32 v75, v75, v7                                 // 000000009294: 0A960F4B
	v_mul_f32_e32 v72, v72, v168                               // 000000009298: 0A915148
	v_mul_f32_e32 v73, v73, v169                               // 00000000929C: 0A935349
	v_mul_f32_e32 v74, v74, v170                               // 0000000092A0: 0A95554A
	v_mul_f32_e32 v75, v75, v171                               // 0000000092A4: 0A97574B
	v_pk_mul_f32 v[4:5], v[76:77], v[76:77]                    // 0000000092A8: D3B14004 1802994C
	v_pk_mul_f32 v[6:7], v[78:79], v[78:79]                    // 0000000092B0: D3B14006 18029D4E
	v_pk_fma_f32 v[4:5], v[4:5], s[78:79], v[8:9]              // 0000000092B8: D3B04004 1C209D04
	v_pk_fma_f32 v[6:7], v[6:7], s[78:79], v[8:9]              // 0000000092C0: D3B04006 1C209D06
	v_pk_mul_f32 v[4:5], v[4:5], v[76:77]                      // 0000000092C8: D3B14004 18029904
	v_pk_mul_f32 v[6:7], v[6:7], v[78:79]                      // 0000000092D0: D3B14006 18029D06
	v_pk_mul_f32 v[4:5], v[4:5], s[60:61]                      // 0000000092D8: D3B14004 18007904
	v_pk_mul_f32 v[6:7], v[6:7], s[60:61]                      // 0000000092E0: D3B14006 18007906
	v_exp_f32_e32 v4, v4                                       // 0000000092E8: 7E084104
	v_exp_f32_e32 v5, v5                                       // 0000000092EC: 7E0A4105
	v_exp_f32_e32 v6, v6                                       // 0000000092F0: 7E0C4106
	v_exp_f32_e32 v7, v7                                       // 0000000092F4: 7E0E4107
	v_add_f32_e64 v4, v4, 1.0                                  // 0000000092F8: D1010004 0001E504
	v_add_f32_e64 v5, v5, 1.0                                  // 000000009300: D1010005 0001E505
	v_add_f32_e64 v6, v6, 1.0                                  // 000000009308: D1010006 0001E506
	v_add_f32_e64 v7, v7, 1.0                                  // 000000009310: D1010007 0001E507
	v_rcp_f32_e32 v4, v4                                       // 000000009318: 7E084504
	v_rcp_f32_e32 v5, v5                                       // 00000000931C: 7E0A4505
	v_rcp_f32_e32 v6, v6                                       // 000000009320: 7E0C4506
	v_rcp_f32_e32 v7, v7                                       // 000000009324: 7E0E4507
	v_mul_f32_e32 v76, v76, v4                                 // 000000009328: 0A98094C
	v_mul_f32_e32 v77, v77, v5                                 // 00000000932C: 0A9A0B4D
	v_mul_f32_e32 v78, v78, v6                                 // 000000009330: 0A9C0D4E
	v_mul_f32_e32 v79, v79, v7                                 // 000000009334: 0A9E0F4F
	v_mul_f32_e32 v76, v76, v172                               // 000000009338: 0A99594C
	v_mul_f32_e32 v77, v77, v173                               // 00000000933C: 0A9B5B4D
	v_mul_f32_e32 v78, v78, v174                               // 000000009340: 0A9D5D4E
	v_mul_f32_e32 v79, v79, v175                               // 000000009344: 0A9F5F4F
	v_pk_mul_f32 v[4:5], v[80:81], v[80:81]                    // 000000009348: D3B14004 1802A150
	v_pk_mul_f32 v[6:7], v[82:83], v[82:83]                    // 000000009350: D3B14006 1802A552
	v_pk_fma_f32 v[4:5], v[4:5], s[78:79], v[8:9]              // 000000009358: D3B04004 1C209D04
	v_pk_fma_f32 v[6:7], v[6:7], s[78:79], v[8:9]              // 000000009360: D3B04006 1C209D06
	v_pk_mul_f32 v[4:5], v[4:5], v[80:81]                      // 000000009368: D3B14004 1802A104
	v_pk_mul_f32 v[6:7], v[6:7], v[82:83]                      // 000000009370: D3B14006 1802A506
	v_pk_mul_f32 v[4:5], v[4:5], s[60:61]                      // 000000009378: D3B14004 18007904
	v_pk_mul_f32 v[6:7], v[6:7], s[60:61]                      // 000000009380: D3B14006 18007906
	v_exp_f32_e32 v4, v4                                       // 000000009388: 7E084104
	v_exp_f32_e32 v5, v5                                       // 00000000938C: 7E0A4105
	v_exp_f32_e32 v6, v6                                       // 000000009390: 7E0C4106
	v_exp_f32_e32 v7, v7                                       // 000000009394: 7E0E4107
	v_add_f32_e64 v4, v4, 1.0                                  // 000000009398: D1010004 0001E504
	v_add_f32_e64 v5, v5, 1.0                                  // 0000000093A0: D1010005 0001E505
	v_add_f32_e64 v6, v6, 1.0                                  // 0000000093A8: D1010006 0001E506
	v_add_f32_e64 v7, v7, 1.0                                  // 0000000093B0: D1010007 0001E507
	v_rcp_f32_e32 v4, v4                                       // 0000000093B8: 7E084504
	v_rcp_f32_e32 v5, v5                                       // 0000000093BC: 7E0A4505
	v_rcp_f32_e32 v6, v6                                       // 0000000093C0: 7E0C4506
	v_rcp_f32_e32 v7, v7                                       // 0000000093C4: 7E0E4507
	v_mul_f32_e32 v80, v80, v4                                 // 0000000093C8: 0AA00950
	v_mul_f32_e32 v81, v81, v5                                 // 0000000093CC: 0AA20B51
	v_mul_f32_e32 v82, v82, v6                                 // 0000000093D0: 0AA40D52
	v_mul_f32_e32 v83, v83, v7                                 // 0000000093D4: 0AA60F53
	v_mul_f32_e32 v80, v80, v176                               // 0000000093D8: 0AA16150
	v_mul_f32_e32 v81, v81, v177                               // 0000000093DC: 0AA36351
	v_mul_f32_e32 v82, v82, v178                               // 0000000093E0: 0AA56552
	v_mul_f32_e32 v83, v83, v179                               // 0000000093E4: 0AA76753
	v_pk_mul_f32 v[4:5], v[84:85], v[84:85]                    // 0000000093E8: D3B14004 1802A954
	v_pk_mul_f32 v[6:7], v[86:87], v[86:87]                    // 0000000093F0: D3B14006 1802AD56
	v_pk_fma_f32 v[4:5], v[4:5], s[78:79], v[8:9]              // 0000000093F8: D3B04004 1C209D04
	v_pk_fma_f32 v[6:7], v[6:7], s[78:79], v[8:9]              // 000000009400: D3B04006 1C209D06
	v_pk_mul_f32 v[4:5], v[4:5], v[84:85]                      // 000000009408: D3B14004 1802A904
	v_pk_mul_f32 v[6:7], v[6:7], v[86:87]                      // 000000009410: D3B14006 1802AD06
	v_pk_mul_f32 v[4:5], v[4:5], s[60:61]                      // 000000009418: D3B14004 18007904
	v_pk_mul_f32 v[6:7], v[6:7], s[60:61]                      // 000000009420: D3B14006 18007906
	v_exp_f32_e32 v4, v4                                       // 000000009428: 7E084104
	v_exp_f32_e32 v5, v5                                       // 00000000942C: 7E0A4105
	v_exp_f32_e32 v6, v6                                       // 000000009430: 7E0C4106
	v_exp_f32_e32 v7, v7                                       // 000000009434: 7E0E4107
	v_add_f32_e64 v4, v4, 1.0                                  // 000000009438: D1010004 0001E504
	v_add_f32_e64 v5, v5, 1.0                                  // 000000009440: D1010005 0001E505
	v_add_f32_e64 v6, v6, 1.0                                  // 000000009448: D1010006 0001E506
	v_add_f32_e64 v7, v7, 1.0                                  // 000000009450: D1010007 0001E507
	v_rcp_f32_e32 v4, v4                                       // 000000009458: 7E084504
	v_rcp_f32_e32 v5, v5                                       // 00000000945C: 7E0A4505
	v_rcp_f32_e32 v6, v6                                       // 000000009460: 7E0C4506
	v_rcp_f32_e32 v7, v7                                       // 000000009464: 7E0E4507
	v_mul_f32_e32 v84, v84, v4                                 // 000000009468: 0AA80954
	v_mul_f32_e32 v85, v85, v5                                 // 00000000946C: 0AAA0B55
	v_mul_f32_e32 v86, v86, v6                                 // 000000009470: 0AAC0D56
	v_mul_f32_e32 v87, v87, v7                                 // 000000009474: 0AAE0F57
	v_mul_f32_e32 v84, v84, v180                               // 000000009478: 0AA96954
	v_mul_f32_e32 v85, v85, v181                               // 00000000947C: 0AAB6B55
	v_mul_f32_e32 v86, v86, v182                               // 000000009480: 0AAD6D56
	v_mul_f32_e32 v87, v87, v183                               // 000000009484: 0AAF6F57
	v_pk_mul_f32 v[4:5], v[88:89], v[88:89]                    // 000000009488: D3B14004 1802B158
	v_pk_mul_f32 v[6:7], v[90:91], v[90:91]                    // 000000009490: D3B14006 1802B55A
	v_pk_fma_f32 v[4:5], v[4:5], s[78:79], v[8:9]              // 000000009498: D3B04004 1C209D04
	v_pk_fma_f32 v[6:7], v[6:7], s[78:79], v[8:9]              // 0000000094A0: D3B04006 1C209D06
	v_pk_mul_f32 v[4:5], v[4:5], v[88:89]                      // 0000000094A8: D3B14004 1802B104
	v_pk_mul_f32 v[6:7], v[6:7], v[90:91]                      // 0000000094B0: D3B14006 1802B506
	v_pk_mul_f32 v[4:5], v[4:5], s[60:61]                      // 0000000094B8: D3B14004 18007904
	v_pk_mul_f32 v[6:7], v[6:7], s[60:61]                      // 0000000094C0: D3B14006 18007906
	v_exp_f32_e32 v4, v4                                       // 0000000094C8: 7E084104
	v_exp_f32_e32 v5, v5                                       // 0000000094CC: 7E0A4105
	v_exp_f32_e32 v6, v6                                       // 0000000094D0: 7E0C4106
	v_exp_f32_e32 v7, v7                                       // 0000000094D4: 7E0E4107
	v_add_f32_e64 v4, v4, 1.0                                  // 0000000094D8: D1010004 0001E504
	v_add_f32_e64 v5, v5, 1.0                                  // 0000000094E0: D1010005 0001E505
	v_add_f32_e64 v6, v6, 1.0                                  // 0000000094E8: D1010006 0001E506
	v_add_f32_e64 v7, v7, 1.0                                  // 0000000094F0: D1010007 0001E507
	v_rcp_f32_e32 v4, v4                                       // 0000000094F8: 7E084504
	v_rcp_f32_e32 v5, v5                                       // 0000000094FC: 7E0A4505
	v_rcp_f32_e32 v6, v6                                       // 000000009500: 7E0C4506
	v_rcp_f32_e32 v7, v7                                       // 000000009504: 7E0E4507
	v_mul_f32_e32 v88, v88, v4                                 // 000000009508: 0AB00958
	v_mul_f32_e32 v89, v89, v5                                 // 00000000950C: 0AB20B59
	v_mul_f32_e32 v90, v90, v6                                 // 000000009510: 0AB40D5A
	v_mul_f32_e32 v91, v91, v7                                 // 000000009514: 0AB60F5B
	v_mul_f32_e32 v88, v88, v184                               // 000000009518: 0AB17158
	v_mul_f32_e32 v89, v89, v185                               // 00000000951C: 0AB37359
	v_mul_f32_e32 v90, v90, v186                               // 000000009520: 0AB5755A
	v_mul_f32_e32 v91, v91, v187                               // 000000009524: 0AB7775B
	v_pk_mul_f32 v[4:5], v[92:93], v[92:93]                    // 000000009528: D3B14004 1802B95C
	v_pk_mul_f32 v[6:7], v[94:95], v[94:95]                    // 000000009530: D3B14006 1802BD5E
	v_pk_fma_f32 v[4:5], v[4:5], s[78:79], v[8:9]              // 000000009538: D3B04004 1C209D04
	v_pk_fma_f32 v[6:7], v[6:7], s[78:79], v[8:9]              // 000000009540: D3B04006 1C209D06
	v_pk_mul_f32 v[4:5], v[4:5], v[92:93]                      // 000000009548: D3B14004 1802B904
	v_pk_mul_f32 v[6:7], v[6:7], v[94:95]                      // 000000009550: D3B14006 1802BD06
	v_pk_mul_f32 v[4:5], v[4:5], s[60:61]                      // 000000009558: D3B14004 18007904
	v_pk_mul_f32 v[6:7], v[6:7], s[60:61]                      // 000000009560: D3B14006 18007906
	v_exp_f32_e32 v4, v4                                       // 000000009568: 7E084104
	v_exp_f32_e32 v5, v5                                       // 00000000956C: 7E0A4105
	v_exp_f32_e32 v6, v6                                       // 000000009570: 7E0C4106
	v_exp_f32_e32 v7, v7                                       // 000000009574: 7E0E4107
	v_add_f32_e64 v4, v4, 1.0                                  // 000000009578: D1010004 0001E504
	v_add_f32_e64 v5, v5, 1.0                                  // 000000009580: D1010005 0001E505
	v_add_f32_e64 v6, v6, 1.0                                  // 000000009588: D1010006 0001E506
	v_add_f32_e64 v7, v7, 1.0                                  // 000000009590: D1010007 0001E507
	v_rcp_f32_e32 v4, v4                                       // 000000009598: 7E084504
	v_rcp_f32_e32 v5, v5                                       // 00000000959C: 7E0A4505
	v_rcp_f32_e32 v6, v6                                       // 0000000095A0: 7E0C4506
	v_rcp_f32_e32 v7, v7                                       // 0000000095A4: 7E0E4507
	v_mul_f32_e32 v92, v92, v4                                 // 0000000095A8: 0AB8095C
	v_mul_f32_e32 v93, v93, v5                                 // 0000000095AC: 0ABA0B5D
	v_mul_f32_e32 v94, v94, v6                                 // 0000000095B0: 0ABC0D5E
	v_mul_f32_e32 v95, v95, v7                                 // 0000000095B4: 0ABE0F5F
	v_mul_f32_e32 v92, v92, v188                               // 0000000095B8: 0AB9795C
	v_mul_f32_e32 v93, v93, v189                               // 0000000095BC: 0ABB7B5D
	v_mul_f32_e32 v94, v94, v190                               // 0000000095C0: 0ABD7D5E
	v_mul_f32_e32 v95, v95, v191                               // 0000000095C4: 0ABF7F5F
	v_pk_mul_f32 v[4:5], v[96:97], v[96:97]                    // 0000000095C8: D3B14004 1802C160
	v_pk_mul_f32 v[6:7], v[98:99], v[98:99]                    // 0000000095D0: D3B14006 1802C562
	v_pk_fma_f32 v[4:5], v[4:5], s[78:79], v[8:9]              // 0000000095D8: D3B04004 1C209D04
	v_pk_fma_f32 v[6:7], v[6:7], s[78:79], v[8:9]              // 0000000095E0: D3B04006 1C209D06
	v_pk_mul_f32 v[4:5], v[4:5], v[96:97]                      // 0000000095E8: D3B14004 1802C104
	v_pk_mul_f32 v[6:7], v[6:7], v[98:99]                      // 0000000095F0: D3B14006 1802C506
	v_pk_mul_f32 v[4:5], v[4:5], s[60:61]                      // 0000000095F8: D3B14004 18007904
	v_pk_mul_f32 v[6:7], v[6:7], s[60:61]                      // 000000009600: D3B14006 18007906
	v_exp_f32_e32 v4, v4                                       // 000000009608: 7E084104
	v_exp_f32_e32 v5, v5                                       // 00000000960C: 7E0A4105
	v_exp_f32_e32 v6, v6                                       // 000000009610: 7E0C4106
	v_exp_f32_e32 v7, v7                                       // 000000009614: 7E0E4107
	v_add_f32_e64 v4, v4, 1.0                                  // 000000009618: D1010004 0001E504
	v_add_f32_e64 v5, v5, 1.0                                  // 000000009620: D1010005 0001E505
	v_add_f32_e64 v6, v6, 1.0                                  // 000000009628: D1010006 0001E506
	v_add_f32_e64 v7, v7, 1.0                                  // 000000009630: D1010007 0001E507
	v_rcp_f32_e32 v4, v4                                       // 000000009638: 7E084504
	v_rcp_f32_e32 v5, v5                                       // 00000000963C: 7E0A4505
	v_rcp_f32_e32 v6, v6                                       // 000000009640: 7E0C4506
	v_rcp_f32_e32 v7, v7                                       // 000000009644: 7E0E4507
	v_mul_f32_e32 v96, v96, v4                                 // 000000009648: 0AC00960
	v_mul_f32_e32 v97, v97, v5                                 // 00000000964C: 0AC20B61
	v_mul_f32_e32 v98, v98, v6                                 // 000000009650: 0AC40D62
	v_mul_f32_e32 v99, v99, v7                                 // 000000009654: 0AC60F63
	v_mul_f32_e32 v96, v96, v192                               // 000000009658: 0AC18160
	v_mul_f32_e32 v97, v97, v193                               // 00000000965C: 0AC38361
	v_mul_f32_e32 v98, v98, v194                               // 000000009660: 0AC58562
	v_mul_f32_e32 v99, v99, v195                               // 000000009664: 0AC78763
	v_pk_mul_f32 v[4:5], v[100:101], v[100:101]                // 000000009668: D3B14004 1802C964
	v_pk_mul_f32 v[6:7], v[102:103], v[102:103]                // 000000009670: D3B14006 1802CD66
	v_pk_fma_f32 v[4:5], v[4:5], s[78:79], v[8:9]              // 000000009678: D3B04004 1C209D04
	v_pk_fma_f32 v[6:7], v[6:7], s[78:79], v[8:9]              // 000000009680: D3B04006 1C209D06
	v_pk_mul_f32 v[4:5], v[4:5], v[100:101]                    // 000000009688: D3B14004 1802C904
	v_pk_mul_f32 v[6:7], v[6:7], v[102:103]                    // 000000009690: D3B14006 1802CD06
	v_pk_mul_f32 v[4:5], v[4:5], s[60:61]                      // 000000009698: D3B14004 18007904
	v_pk_mul_f32 v[6:7], v[6:7], s[60:61]                      // 0000000096A0: D3B14006 18007906
	v_exp_f32_e32 v4, v4                                       // 0000000096A8: 7E084104
	v_exp_f32_e32 v5, v5                                       // 0000000096AC: 7E0A4105
	v_exp_f32_e32 v6, v6                                       // 0000000096B0: 7E0C4106
	v_exp_f32_e32 v7, v7                                       // 0000000096B4: 7E0E4107
	v_add_f32_e64 v4, v4, 1.0                                  // 0000000096B8: D1010004 0001E504
	v_add_f32_e64 v5, v5, 1.0                                  // 0000000096C0: D1010005 0001E505
	v_add_f32_e64 v6, v6, 1.0                                  // 0000000096C8: D1010006 0001E506
	v_add_f32_e64 v7, v7, 1.0                                  // 0000000096D0: D1010007 0001E507
	v_rcp_f32_e32 v4, v4                                       // 0000000096D8: 7E084504
	v_rcp_f32_e32 v5, v5                                       // 0000000096DC: 7E0A4505
	v_rcp_f32_e32 v6, v6                                       // 0000000096E0: 7E0C4506
	v_rcp_f32_e32 v7, v7                                       // 0000000096E4: 7E0E4507
	v_mul_f32_e32 v100, v100, v4                               // 0000000096E8: 0AC80964
	v_mul_f32_e32 v101, v101, v5                               // 0000000096EC: 0ACA0B65
	v_mul_f32_e32 v102, v102, v6                               // 0000000096F0: 0ACC0D66
	v_mul_f32_e32 v103, v103, v7                               // 0000000096F4: 0ACE0F67
	v_mul_f32_e32 v100, v100, v196                             // 0000000096F8: 0AC98964
	v_mul_f32_e32 v101, v101, v197                             // 0000000096FC: 0ACB8B65
	v_mul_f32_e32 v102, v102, v198                             // 000000009700: 0ACD8D66
	v_mul_f32_e32 v103, v103, v199                             // 000000009704: 0ACF8F67
	v_pk_mul_f32 v[4:5], v[104:105], v[104:105]                // 000000009708: D3B14004 1802D168
	v_pk_mul_f32 v[6:7], v[106:107], v[106:107]                // 000000009710: D3B14006 1802D56A
	v_pk_fma_f32 v[4:5], v[4:5], s[78:79], v[8:9]              // 000000009718: D3B04004 1C209D04
	v_pk_fma_f32 v[6:7], v[6:7], s[78:79], v[8:9]              // 000000009720: D3B04006 1C209D06
	v_pk_mul_f32 v[4:5], v[4:5], v[104:105]                    // 000000009728: D3B14004 1802D104
	v_pk_mul_f32 v[6:7], v[6:7], v[106:107]                    // 000000009730: D3B14006 1802D506
	v_pk_mul_f32 v[4:5], v[4:5], s[60:61]                      // 000000009738: D3B14004 18007904
	v_pk_mul_f32 v[6:7], v[6:7], s[60:61]                      // 000000009740: D3B14006 18007906
	v_exp_f32_e32 v4, v4                                       // 000000009748: 7E084104
	v_exp_f32_e32 v5, v5                                       // 00000000974C: 7E0A4105
	v_exp_f32_e32 v6, v6                                       // 000000009750: 7E0C4106
	v_exp_f32_e32 v7, v7                                       // 000000009754: 7E0E4107
	v_add_f32_e64 v4, v4, 1.0                                  // 000000009758: D1010004 0001E504
	v_add_f32_e64 v5, v5, 1.0                                  // 000000009760: D1010005 0001E505
	v_add_f32_e64 v6, v6, 1.0                                  // 000000009768: D1010006 0001E506
	v_add_f32_e64 v7, v7, 1.0                                  // 000000009770: D1010007 0001E507
	v_rcp_f32_e32 v4, v4                                       // 000000009778: 7E084504
	v_rcp_f32_e32 v5, v5                                       // 00000000977C: 7E0A4505
	v_rcp_f32_e32 v6, v6                                       // 000000009780: 7E0C4506
	v_rcp_f32_e32 v7, v7                                       // 000000009784: 7E0E4507
	v_mul_f32_e32 v104, v104, v4                               // 000000009788: 0AD00968
	v_mul_f32_e32 v105, v105, v5                               // 00000000978C: 0AD20B69
	v_mul_f32_e32 v106, v106, v6                               // 000000009790: 0AD40D6A
	v_mul_f32_e32 v107, v107, v7                               // 000000009794: 0AD60F6B
	v_mul_f32_e32 v104, v104, v200                             // 000000009798: 0AD19168
	v_mul_f32_e32 v105, v105, v201                             // 00000000979C: 0AD39369
	v_mul_f32_e32 v106, v106, v202                             // 0000000097A0: 0AD5956A
	v_mul_f32_e32 v107, v107, v203                             // 0000000097A4: 0AD7976B
	v_pk_mul_f32 v[4:5], v[108:109], v[108:109]                // 0000000097A8: D3B14004 1802D96C
	v_pk_mul_f32 v[6:7], v[110:111], v[110:111]                // 0000000097B0: D3B14006 1802DD6E
	v_pk_fma_f32 v[4:5], v[4:5], s[78:79], v[8:9]              // 0000000097B8: D3B04004 1C209D04
	v_pk_fma_f32 v[6:7], v[6:7], s[78:79], v[8:9]              // 0000000097C0: D3B04006 1C209D06
	v_pk_mul_f32 v[4:5], v[4:5], v[108:109]                    // 0000000097C8: D3B14004 1802D904
	v_pk_mul_f32 v[6:7], v[6:7], v[110:111]                    // 0000000097D0: D3B14006 1802DD06
	v_pk_mul_f32 v[4:5], v[4:5], s[60:61]                      // 0000000097D8: D3B14004 18007904
	v_pk_mul_f32 v[6:7], v[6:7], s[60:61]                      // 0000000097E0: D3B14006 18007906
	v_exp_f32_e32 v4, v4                                       // 0000000097E8: 7E084104
	v_exp_f32_e32 v5, v5                                       // 0000000097EC: 7E0A4105
	v_exp_f32_e32 v6, v6                                       // 0000000097F0: 7E0C4106
	v_exp_f32_e32 v7, v7                                       // 0000000097F4: 7E0E4107
	v_add_f32_e64 v4, v4, 1.0                                  // 0000000097F8: D1010004 0001E504
	v_add_f32_e64 v5, v5, 1.0                                  // 000000009800: D1010005 0001E505
	v_add_f32_e64 v6, v6, 1.0                                  // 000000009808: D1010006 0001E506
	v_add_f32_e64 v7, v7, 1.0                                  // 000000009810: D1010007 0001E507
	v_rcp_f32_e32 v4, v4                                       // 000000009818: 7E084504
	v_rcp_f32_e32 v5, v5                                       // 00000000981C: 7E0A4505
	v_rcp_f32_e32 v6, v6                                       // 000000009820: 7E0C4506
	v_rcp_f32_e32 v7, v7                                       // 000000009824: 7E0E4507
	v_mul_f32_e32 v108, v108, v4                               // 000000009828: 0AD8096C
	v_mul_f32_e32 v109, v109, v5                               // 00000000982C: 0ADA0B6D
	v_mul_f32_e32 v110, v110, v6                               // 000000009830: 0ADC0D6E
	v_mul_f32_e32 v111, v111, v7                               // 000000009834: 0ADE0F6F
	v_mul_f32_e32 v108, v108, v204                             // 000000009838: 0AD9996C
	v_mul_f32_e32 v109, v109, v205                             // 00000000983C: 0ADB9B6D
	v_mul_f32_e32 v110, v110, v206                             // 000000009840: 0ADD9D6E
	v_mul_f32_e32 v111, v111, v207                             // 000000009844: 0ADF9F6F
	v_pk_mul_f32 v[4:5], v[112:113], v[112:113]                // 000000009848: D3B14004 1802E170
	v_pk_mul_f32 v[6:7], v[114:115], v[114:115]                // 000000009850: D3B14006 1802E572
	v_pk_fma_f32 v[4:5], v[4:5], s[78:79], v[8:9]              // 000000009858: D3B04004 1C209D04
	v_pk_fma_f32 v[6:7], v[6:7], s[78:79], v[8:9]              // 000000009860: D3B04006 1C209D06
	v_pk_mul_f32 v[4:5], v[4:5], v[112:113]                    // 000000009868: D3B14004 1802E104
	v_pk_mul_f32 v[6:7], v[6:7], v[114:115]                    // 000000009870: D3B14006 1802E506
	v_pk_mul_f32 v[4:5], v[4:5], s[60:61]                      // 000000009878: D3B14004 18007904
	v_pk_mul_f32 v[6:7], v[6:7], s[60:61]                      // 000000009880: D3B14006 18007906
	v_exp_f32_e32 v4, v4                                       // 000000009888: 7E084104
	v_exp_f32_e32 v5, v5                                       // 00000000988C: 7E0A4105
	v_exp_f32_e32 v6, v6                                       // 000000009890: 7E0C4106
	v_exp_f32_e32 v7, v7                                       // 000000009894: 7E0E4107
	v_add_f32_e64 v4, v4, 1.0                                  // 000000009898: D1010004 0001E504
	v_add_f32_e64 v5, v5, 1.0                                  // 0000000098A0: D1010005 0001E505
	v_add_f32_e64 v6, v6, 1.0                                  // 0000000098A8: D1010006 0001E506
	v_add_f32_e64 v7, v7, 1.0                                  // 0000000098B0: D1010007 0001E507
	v_rcp_f32_e32 v4, v4                                       // 0000000098B8: 7E084504
	v_rcp_f32_e32 v5, v5                                       // 0000000098BC: 7E0A4505
	v_rcp_f32_e32 v6, v6                                       // 0000000098C0: 7E0C4506
	v_rcp_f32_e32 v7, v7                                       // 0000000098C4: 7E0E4507
	v_mul_f32_e32 v112, v112, v4                               // 0000000098C8: 0AE00970
	v_mul_f32_e32 v113, v113, v5                               // 0000000098CC: 0AE20B71
	v_mul_f32_e32 v114, v114, v6                               // 0000000098D0: 0AE40D72
	v_mul_f32_e32 v115, v115, v7                               // 0000000098D4: 0AE60F73
	v_mul_f32_e32 v112, v112, v208                             // 0000000098D8: 0AE1A170
	v_mul_f32_e32 v113, v113, v209                             // 0000000098DC: 0AE3A371
	v_mul_f32_e32 v114, v114, v210                             // 0000000098E0: 0AE5A572
	v_mul_f32_e32 v115, v115, v211                             // 0000000098E4: 0AE7A773
	v_pk_mul_f32 v[4:5], v[116:117], v[116:117]                // 0000000098E8: D3B14004 1802E974
	v_pk_mul_f32 v[6:7], v[118:119], v[118:119]                // 0000000098F0: D3B14006 1802ED76
	v_pk_fma_f32 v[4:5], v[4:5], s[78:79], v[8:9]              // 0000000098F8: D3B04004 1C209D04
	v_pk_fma_f32 v[6:7], v[6:7], s[78:79], v[8:9]              // 000000009900: D3B04006 1C209D06
	v_pk_mul_f32 v[4:5], v[4:5], v[116:117]                    // 000000009908: D3B14004 1802E904
	v_pk_mul_f32 v[6:7], v[6:7], v[118:119]                    // 000000009910: D3B14006 1802ED06
	v_pk_mul_f32 v[4:5], v[4:5], s[60:61]                      // 000000009918: D3B14004 18007904
	v_pk_mul_f32 v[6:7], v[6:7], s[60:61]                      // 000000009920: D3B14006 18007906
	v_exp_f32_e32 v4, v4                                       // 000000009928: 7E084104
	v_exp_f32_e32 v5, v5                                       // 00000000992C: 7E0A4105
	v_exp_f32_e32 v6, v6                                       // 000000009930: 7E0C4106
	v_exp_f32_e32 v7, v7                                       // 000000009934: 7E0E4107
	v_add_f32_e64 v4, v4, 1.0                                  // 000000009938: D1010004 0001E504
	v_add_f32_e64 v5, v5, 1.0                                  // 000000009940: D1010005 0001E505
	v_add_f32_e64 v6, v6, 1.0                                  // 000000009948: D1010006 0001E506
	v_add_f32_e64 v7, v7, 1.0                                  // 000000009950: D1010007 0001E507
	v_rcp_f32_e32 v4, v4                                       // 000000009958: 7E084504
	v_rcp_f32_e32 v5, v5                                       // 00000000995C: 7E0A4505
	v_rcp_f32_e32 v6, v6                                       // 000000009960: 7E0C4506
	v_rcp_f32_e32 v7, v7                                       // 000000009964: 7E0E4507
	v_mul_f32_e32 v116, v116, v4                               // 000000009968: 0AE80974
	v_mul_f32_e32 v117, v117, v5                               // 00000000996C: 0AEA0B75
	v_mul_f32_e32 v118, v118, v6                               // 000000009970: 0AEC0D76
	v_mul_f32_e32 v119, v119, v7                               // 000000009974: 0AEE0F77
	v_mul_f32_e32 v116, v116, v212                             // 000000009978: 0AE9A974
	v_mul_f32_e32 v117, v117, v213                             // 00000000997C: 0AEBAB75
	v_mul_f32_e32 v118, v118, v214                             // 000000009980: 0AEDAD76
	v_mul_f32_e32 v119, v119, v215                             // 000000009984: 0AEFAF77
	v_pk_mul_f32 v[4:5], v[120:121], v[120:121]                // 000000009988: D3B14004 1802F178
	v_pk_mul_f32 v[6:7], v[122:123], v[122:123]                // 000000009990: D3B14006 1802F57A
	v_pk_fma_f32 v[4:5], v[4:5], s[78:79], v[8:9]              // 000000009998: D3B04004 1C209D04
	v_pk_fma_f32 v[6:7], v[6:7], s[78:79], v[8:9]              // 0000000099A0: D3B04006 1C209D06
	v_pk_mul_f32 v[4:5], v[4:5], v[120:121]                    // 0000000099A8: D3B14004 1802F104
	v_pk_mul_f32 v[6:7], v[6:7], v[122:123]                    // 0000000099B0: D3B14006 1802F506
	v_pk_mul_f32 v[4:5], v[4:5], s[60:61]                      // 0000000099B8: D3B14004 18007904
	v_pk_mul_f32 v[6:7], v[6:7], s[60:61]                      // 0000000099C0: D3B14006 18007906
	v_exp_f32_e32 v4, v4                                       // 0000000099C8: 7E084104
	v_exp_f32_e32 v5, v5                                       // 0000000099CC: 7E0A4105
	v_exp_f32_e32 v6, v6                                       // 0000000099D0: 7E0C4106
	v_exp_f32_e32 v7, v7                                       // 0000000099D4: 7E0E4107
	v_add_f32_e64 v4, v4, 1.0                                  // 0000000099D8: D1010004 0001E504
	v_add_f32_e64 v5, v5, 1.0                                  // 0000000099E0: D1010005 0001E505
	v_add_f32_e64 v6, v6, 1.0                                  // 0000000099E8: D1010006 0001E506
	v_add_f32_e64 v7, v7, 1.0                                  // 0000000099F0: D1010007 0001E507
	v_rcp_f32_e32 v4, v4                                       // 0000000099F8: 7E084504
	v_rcp_f32_e32 v5, v5                                       // 0000000099FC: 7E0A4505
	v_rcp_f32_e32 v6, v6                                       // 000000009A00: 7E0C4506
	v_rcp_f32_e32 v7, v7                                       // 000000009A04: 7E0E4507
	v_mul_f32_e32 v120, v120, v4                               // 000000009A08: 0AF00978
	v_mul_f32_e32 v121, v121, v5                               // 000000009A0C: 0AF20B79
	v_mul_f32_e32 v122, v122, v6                               // 000000009A10: 0AF40D7A
	v_mul_f32_e32 v123, v123, v7                               // 000000009A14: 0AF60F7B
	v_mul_f32_e32 v120, v120, v216                             // 000000009A18: 0AF1B178
	v_mul_f32_e32 v121, v121, v217                             // 000000009A1C: 0AF3B379
	v_mul_f32_e32 v122, v122, v218                             // 000000009A20: 0AF5B57A
	v_mul_f32_e32 v123, v123, v219                             // 000000009A24: 0AF7B77B
	v_pk_mul_f32 v[4:5], v[124:125], v[124:125]                // 000000009A28: D3B14004 1802F97C
	v_pk_mul_f32 v[6:7], v[126:127], v[126:127]                // 000000009A30: D3B14006 1802FD7E
	v_pk_fma_f32 v[4:5], v[4:5], s[78:79], v[8:9]              // 000000009A38: D3B04004 1C209D04
	v_pk_fma_f32 v[6:7], v[6:7], s[78:79], v[8:9]              // 000000009A40: D3B04006 1C209D06
	v_pk_mul_f32 v[4:5], v[4:5], v[124:125]                    // 000000009A48: D3B14004 1802F904
	v_pk_mul_f32 v[6:7], v[6:7], v[126:127]                    // 000000009A50: D3B14006 1802FD06
	v_pk_mul_f32 v[4:5], v[4:5], s[60:61]                      // 000000009A58: D3B14004 18007904
	v_pk_mul_f32 v[6:7], v[6:7], s[60:61]                      // 000000009A60: D3B14006 18007906
	v_exp_f32_e32 v4, v4                                       // 000000009A68: 7E084104
	v_exp_f32_e32 v5, v5                                       // 000000009A6C: 7E0A4105
	v_exp_f32_e32 v6, v6                                       // 000000009A70: 7E0C4106
	v_exp_f32_e32 v7, v7                                       // 000000009A74: 7E0E4107
	v_add_f32_e64 v4, v4, 1.0                                  // 000000009A78: D1010004 0001E504
	v_add_f32_e64 v5, v5, 1.0                                  // 000000009A80: D1010005 0001E505
	v_add_f32_e64 v6, v6, 1.0                                  // 000000009A88: D1010006 0001E506
	v_add_f32_e64 v7, v7, 1.0                                  // 000000009A90: D1010007 0001E507
	v_rcp_f32_e32 v4, v4                                       // 000000009A98: 7E084504
	v_rcp_f32_e32 v5, v5                                       // 000000009A9C: 7E0A4505
	v_rcp_f32_e32 v6, v6                                       // 000000009AA0: 7E0C4506
	v_rcp_f32_e32 v7, v7                                       // 000000009AA4: 7E0E4507
	v_mul_f32_e32 v124, v124, v4                               // 000000009AA8: 0AF8097C
	v_mul_f32_e32 v125, v125, v5                               // 000000009AAC: 0AFA0B7D
	v_mul_f32_e32 v126, v126, v6                               // 000000009AB0: 0AFC0D7E
	v_mul_f32_e32 v127, v127, v7                               // 000000009AB4: 0AFE0F7F
	v_mul_f32_e32 v124, v124, v220                             // 000000009AB8: 0AF9B97C
	v_mul_f32_e32 v125, v125, v221                             // 000000009ABC: 0AFBBB7D
	v_mul_f32_e32 v126, v126, v222                             // 000000009AC0: 0AFDBD7E
	v_mul_f32_e32 v127, v127, v223                             // 000000009AC4: 0AFFBF7F
	v_pk_mul_f32 v[4:5], v[128:129], v[128:129]                // 000000009AC8: D3B14004 18030180
	v_pk_mul_f32 v[6:7], v[130:131], v[130:131]                // 000000009AD0: D3B14006 18030582
	v_pk_fma_f32 v[4:5], v[4:5], s[78:79], v[8:9]              // 000000009AD8: D3B04004 1C209D04
	v_pk_fma_f32 v[6:7], v[6:7], s[78:79], v[8:9]              // 000000009AE0: D3B04006 1C209D06
	v_pk_mul_f32 v[4:5], v[4:5], v[128:129]                    // 000000009AE8: D3B14004 18030104
	v_pk_mul_f32 v[6:7], v[6:7], v[130:131]                    // 000000009AF0: D3B14006 18030506
	v_pk_mul_f32 v[4:5], v[4:5], s[60:61]                      // 000000009AF8: D3B14004 18007904
	v_pk_mul_f32 v[6:7], v[6:7], s[60:61]                      // 000000009B00: D3B14006 18007906
	v_exp_f32_e32 v4, v4                                       // 000000009B08: 7E084104
	v_exp_f32_e32 v5, v5                                       // 000000009B0C: 7E0A4105
	v_exp_f32_e32 v6, v6                                       // 000000009B10: 7E0C4106
	v_exp_f32_e32 v7, v7                                       // 000000009B14: 7E0E4107
	v_add_f32_e64 v4, v4, 1.0                                  // 000000009B18: D1010004 0001E504
	v_add_f32_e64 v5, v5, 1.0                                  // 000000009B20: D1010005 0001E505
	v_add_f32_e64 v6, v6, 1.0                                  // 000000009B28: D1010006 0001E506
	v_add_f32_e64 v7, v7, 1.0                                  // 000000009B30: D1010007 0001E507
	v_rcp_f32_e32 v4, v4                                       // 000000009B38: 7E084504
	v_rcp_f32_e32 v5, v5                                       // 000000009B3C: 7E0A4505
	v_rcp_f32_e32 v6, v6                                       // 000000009B40: 7E0C4506
	v_rcp_f32_e32 v7, v7                                       // 000000009B44: 7E0E4507
	v_mul_f32_e32 v128, v128, v4                               // 000000009B48: 0B000980
	v_mul_f32_e32 v129, v129, v5                               // 000000009B4C: 0B020B81
	v_mul_f32_e32 v130, v130, v6                               // 000000009B50: 0B040D82
	v_mul_f32_e32 v131, v131, v7                               // 000000009B54: 0B060F83
	v_mul_f32_e32 v128, v128, v224                             // 000000009B58: 0B01C180
	v_mul_f32_e32 v129, v129, v225                             // 000000009B5C: 0B03C381
	v_mul_f32_e32 v130, v130, v226                             // 000000009B60: 0B05C582
	v_mul_f32_e32 v131, v131, v227                             // 000000009B64: 0B07C783
	v_pk_mul_f32 v[4:5], v[132:133], v[132:133]                // 000000009B68: D3B14004 18030984
	v_pk_mul_f32 v[6:7], v[134:135], v[134:135]                // 000000009B70: D3B14006 18030D86
	v_pk_fma_f32 v[4:5], v[4:5], s[78:79], v[8:9]              // 000000009B78: D3B04004 1C209D04
	v_pk_fma_f32 v[6:7], v[6:7], s[78:79], v[8:9]              // 000000009B80: D3B04006 1C209D06
	v_pk_mul_f32 v[4:5], v[4:5], v[132:133]                    // 000000009B88: D3B14004 18030904
	v_pk_mul_f32 v[6:7], v[6:7], v[134:135]                    // 000000009B90: D3B14006 18030D06
	v_pk_mul_f32 v[4:5], v[4:5], s[60:61]                      // 000000009B98: D3B14004 18007904
	v_pk_mul_f32 v[6:7], v[6:7], s[60:61]                      // 000000009BA0: D3B14006 18007906
	v_exp_f32_e32 v4, v4                                       // 000000009BA8: 7E084104
	v_exp_f32_e32 v5, v5                                       // 000000009BAC: 7E0A4105
	v_exp_f32_e32 v6, v6                                       // 000000009BB0: 7E0C4106
	v_exp_f32_e32 v7, v7                                       // 000000009BB4: 7E0E4107
	v_add_f32_e64 v4, v4, 1.0                                  // 000000009BB8: D1010004 0001E504
	v_add_f32_e64 v5, v5, 1.0                                  // 000000009BC0: D1010005 0001E505
	v_add_f32_e64 v6, v6, 1.0                                  // 000000009BC8: D1010006 0001E506
	v_add_f32_e64 v7, v7, 1.0                                  // 000000009BD0: D1010007 0001E507
	v_rcp_f32_e32 v4, v4                                       // 000000009BD8: 7E084504
	v_rcp_f32_e32 v5, v5                                       // 000000009BDC: 7E0A4505
	v_rcp_f32_e32 v6, v6                                       // 000000009BE0: 7E0C4506
	v_rcp_f32_e32 v7, v7                                       // 000000009BE4: 7E0E4507
	v_mul_f32_e32 v132, v132, v4                               // 000000009BE8: 0B080984
	v_mul_f32_e32 v133, v133, v5                               // 000000009BEC: 0B0A0B85
	v_mul_f32_e32 v134, v134, v6                               // 000000009BF0: 0B0C0D86
	v_mul_f32_e32 v135, v135, v7                               // 000000009BF4: 0B0E0F87
	v_mul_f32_e32 v132, v132, v228                             // 000000009BF8: 0B09C984
	v_mul_f32_e32 v133, v133, v229                             // 000000009BFC: 0B0BCB85
	v_mul_f32_e32 v134, v134, v230                             // 000000009C00: 0B0DCD86
	v_mul_f32_e32 v135, v135, v231                             // 000000009C04: 0B0FCF87
	v_pk_mul_f32 v[4:5], v[136:137], v[136:137]                // 000000009C08: D3B14004 18031188
	v_pk_mul_f32 v[6:7], v[138:139], v[138:139]                // 000000009C10: D3B14006 1803158A
	v_pk_fma_f32 v[4:5], v[4:5], s[78:79], v[8:9]              // 000000009C18: D3B04004 1C209D04
	v_pk_fma_f32 v[6:7], v[6:7], s[78:79], v[8:9]              // 000000009C20: D3B04006 1C209D06
	v_pk_mul_f32 v[4:5], v[4:5], v[136:137]                    // 000000009C28: D3B14004 18031104
	v_pk_mul_f32 v[6:7], v[6:7], v[138:139]                    // 000000009C30: D3B14006 18031506
	v_pk_mul_f32 v[4:5], v[4:5], s[60:61]                      // 000000009C38: D3B14004 18007904
	v_pk_mul_f32 v[6:7], v[6:7], s[60:61]                      // 000000009C40: D3B14006 18007906
	v_exp_f32_e32 v4, v4                                       // 000000009C48: 7E084104
	v_exp_f32_e32 v5, v5                                       // 000000009C4C: 7E0A4105
	v_exp_f32_e32 v6, v6                                       // 000000009C50: 7E0C4106
	v_exp_f32_e32 v7, v7                                       // 000000009C54: 7E0E4107
	v_add_f32_e64 v4, v4, 1.0                                  // 000000009C58: D1010004 0001E504
	v_add_f32_e64 v5, v5, 1.0                                  // 000000009C60: D1010005 0001E505
	v_add_f32_e64 v6, v6, 1.0                                  // 000000009C68: D1010006 0001E506
	v_add_f32_e64 v7, v7, 1.0                                  // 000000009C70: D1010007 0001E507
	v_rcp_f32_e32 v4, v4                                       // 000000009C78: 7E084504
	v_rcp_f32_e32 v5, v5                                       // 000000009C7C: 7E0A4505
	v_rcp_f32_e32 v6, v6                                       // 000000009C80: 7E0C4506
	v_rcp_f32_e32 v7, v7                                       // 000000009C84: 7E0E4507
	v_mul_f32_e32 v136, v136, v4                               // 000000009C88: 0B100988
	v_mul_f32_e32 v137, v137, v5                               // 000000009C8C: 0B120B89
	v_mul_f32_e32 v138, v138, v6                               // 000000009C90: 0B140D8A
	v_mul_f32_e32 v139, v139, v7                               // 000000009C94: 0B160F8B
	v_mul_f32_e32 v136, v136, v232                             // 000000009C98: 0B11D188
	v_mul_f32_e32 v137, v137, v233                             // 000000009C9C: 0B13D389
	v_mul_f32_e32 v138, v138, v234                             // 000000009CA0: 0B15D58A
	v_mul_f32_e32 v139, v139, v235                             // 000000009CA4: 0B17D78B
	v_pk_mul_f32 v[4:5], v[140:141], v[140:141]                // 000000009CA8: D3B14004 1803198C
	v_pk_mul_f32 v[6:7], v[142:143], v[142:143]                // 000000009CB0: D3B14006 18031D8E
	v_pk_fma_f32 v[4:5], v[4:5], s[78:79], v[8:9]              // 000000009CB8: D3B04004 1C209D04
	v_pk_fma_f32 v[6:7], v[6:7], s[78:79], v[8:9]              // 000000009CC0: D3B04006 1C209D06
	v_pk_mul_f32 v[4:5], v[4:5], v[140:141]                    // 000000009CC8: D3B14004 18031904
	v_pk_mul_f32 v[6:7], v[6:7], v[142:143]                    // 000000009CD0: D3B14006 18031D06
	v_pk_mul_f32 v[4:5], v[4:5], s[60:61]                      // 000000009CD8: D3B14004 18007904
	v_pk_mul_f32 v[6:7], v[6:7], s[60:61]                      // 000000009CE0: D3B14006 18007906
	v_exp_f32_e32 v4, v4                                       // 000000009CE8: 7E084104
	v_exp_f32_e32 v5, v5                                       // 000000009CEC: 7E0A4105
	v_exp_f32_e32 v6, v6                                       // 000000009CF0: 7E0C4106
	v_exp_f32_e32 v7, v7                                       // 000000009CF4: 7E0E4107
	v_add_f32_e64 v4, v4, 1.0                                  // 000000009CF8: D1010004 0001E504
	v_add_f32_e64 v5, v5, 1.0                                  // 000000009D00: D1010005 0001E505
	v_add_f32_e64 v6, v6, 1.0                                  // 000000009D08: D1010006 0001E506
	v_add_f32_e64 v7, v7, 1.0                                  // 000000009D10: D1010007 0001E507
	v_rcp_f32_e32 v4, v4                                       // 000000009D18: 7E084504
	v_rcp_f32_e32 v5, v5                                       // 000000009D1C: 7E0A4505
	v_rcp_f32_e32 v6, v6                                       // 000000009D20: 7E0C4506
	v_rcp_f32_e32 v7, v7                                       // 000000009D24: 7E0E4507
	v_mul_f32_e32 v140, v140, v4                               // 000000009D28: 0B18098C
	v_mul_f32_e32 v141, v141, v5                               // 000000009D2C: 0B1A0B8D
	v_mul_f32_e32 v142, v142, v6                               // 000000009D30: 0B1C0D8E
	v_mul_f32_e32 v143, v143, v7                               // 000000009D34: 0B1E0F8F
	v_mul_f32_e32 v140, v140, v236                             // 000000009D38: 0B19D98C
	v_mul_f32_e32 v141, v141, v237                             // 000000009D3C: 0B1BDB8D
	v_mul_f32_e32 v142, v142, v238                             // 000000009D40: 0B1DDD8E
	v_mul_f32_e32 v143, v143, v239                             // 000000009D44: 0B1FDF8F
	v_pk_mul_f32 v[4:5], v[144:145], v[144:145]                // 000000009D48: D3B14004 18032190
	v_pk_mul_f32 v[6:7], v[146:147], v[146:147]                // 000000009D50: D3B14006 18032592
	v_pk_fma_f32 v[4:5], v[4:5], s[78:79], v[8:9]              // 000000009D58: D3B04004 1C209D04
	v_pk_fma_f32 v[6:7], v[6:7], s[78:79], v[8:9]              // 000000009D60: D3B04006 1C209D06
	v_pk_mul_f32 v[4:5], v[4:5], v[144:145]                    // 000000009D68: D3B14004 18032104
	v_pk_mul_f32 v[6:7], v[6:7], v[146:147]                    // 000000009D70: D3B14006 18032506
	v_pk_mul_f32 v[4:5], v[4:5], s[60:61]                      // 000000009D78: D3B14004 18007904
	v_pk_mul_f32 v[6:7], v[6:7], s[60:61]                      // 000000009D80: D3B14006 18007906
	v_exp_f32_e32 v4, v4                                       // 000000009D88: 7E084104
	v_exp_f32_e32 v5, v5                                       // 000000009D8C: 7E0A4105
	v_exp_f32_e32 v6, v6                                       // 000000009D90: 7E0C4106
	v_exp_f32_e32 v7, v7                                       // 000000009D94: 7E0E4107
	v_add_f32_e64 v4, v4, 1.0                                  // 000000009D98: D1010004 0001E504
	v_add_f32_e64 v5, v5, 1.0                                  // 000000009DA0: D1010005 0001E505
	v_add_f32_e64 v6, v6, 1.0                                  // 000000009DA8: D1010006 0001E506
	v_add_f32_e64 v7, v7, 1.0                                  // 000000009DB0: D1010007 0001E507
	v_rcp_f32_e32 v4, v4                                       // 000000009DB8: 7E084504
	v_rcp_f32_e32 v5, v5                                       // 000000009DBC: 7E0A4505
	v_rcp_f32_e32 v6, v6                                       // 000000009DC0: 7E0C4506
	v_rcp_f32_e32 v7, v7                                       // 000000009DC4: 7E0E4507
	v_mul_f32_e32 v144, v144, v4                               // 000000009DC8: 0B200990
	v_mul_f32_e32 v145, v145, v5                               // 000000009DCC: 0B220B91
	v_mul_f32_e32 v146, v146, v6                               // 000000009DD0: 0B240D92
	v_mul_f32_e32 v147, v147, v7                               // 000000009DD4: 0B260F93
	v_mul_f32_e32 v144, v144, v240                             // 000000009DD8: 0B21E190
	v_mul_f32_e32 v145, v145, v241                             // 000000009DDC: 0B23E391
	v_mul_f32_e32 v146, v146, v242                             // 000000009DE0: 0B25E592
	v_mul_f32_e32 v147, v147, v243                             // 000000009DE4: 0B27E793
	v_pk_mul_f32 v[4:5], v[148:149], v[148:149]                // 000000009DE8: D3B14004 18032994
	v_pk_mul_f32 v[6:7], v[150:151], v[150:151]                // 000000009DF0: D3B14006 18032D96
	v_pk_fma_f32 v[4:5], v[4:5], s[78:79], v[8:9]              // 000000009DF8: D3B04004 1C209D04
	v_pk_fma_f32 v[6:7], v[6:7], s[78:79], v[8:9]              // 000000009E00: D3B04006 1C209D06
	v_pk_mul_f32 v[4:5], v[4:5], v[148:149]                    // 000000009E08: D3B14004 18032904
	v_pk_mul_f32 v[6:7], v[6:7], v[150:151]                    // 000000009E10: D3B14006 18032D06
	v_pk_mul_f32 v[4:5], v[4:5], s[60:61]                      // 000000009E18: D3B14004 18007904
	v_pk_mul_f32 v[6:7], v[6:7], s[60:61]                      // 000000009E20: D3B14006 18007906
	v_exp_f32_e32 v4, v4                                       // 000000009E28: 7E084104
	v_exp_f32_e32 v5, v5                                       // 000000009E2C: 7E0A4105
	v_exp_f32_e32 v6, v6                                       // 000000009E30: 7E0C4106
	v_exp_f32_e32 v7, v7                                       // 000000009E34: 7E0E4107
	v_add_f32_e64 v4, v4, 1.0                                  // 000000009E38: D1010004 0001E504
	v_add_f32_e64 v5, v5, 1.0                                  // 000000009E40: D1010005 0001E505
	v_add_f32_e64 v6, v6, 1.0                                  // 000000009E48: D1010006 0001E506
	v_add_f32_e64 v7, v7, 1.0                                  // 000000009E50: D1010007 0001E507
	v_rcp_f32_e32 v4, v4                                       // 000000009E58: 7E084504
	v_rcp_f32_e32 v5, v5                                       // 000000009E5C: 7E0A4505
	v_rcp_f32_e32 v6, v6                                       // 000000009E60: 7E0C4506
	v_rcp_f32_e32 v7, v7                                       // 000000009E64: 7E0E4507
	v_mul_f32_e32 v148, v148, v4                               // 000000009E68: 0B280994
	v_mul_f32_e32 v149, v149, v5                               // 000000009E6C: 0B2A0B95
	v_mul_f32_e32 v150, v150, v6                               // 000000009E70: 0B2C0D96
	v_mul_f32_e32 v151, v151, v7                               // 000000009E74: 0B2E0F97
	v_mul_f32_e32 v148, v148, v244                             // 000000009E78: 0B29E994
	v_mul_f32_e32 v149, v149, v245                             // 000000009E7C: 0B2BEB95
	v_mul_f32_e32 v150, v150, v246                             // 000000009E80: 0B2DED96
	v_mul_f32_e32 v151, v151, v247                             // 000000009E84: 0B2FEF97
	s_branch label_2023                                        // 000000009E88: BF820300

0000000000009e8c <label_1D23>:
	v_mul_f32_e64 v4, -v56, s6                                 // 000000009E8C: D1050004 20000D38
	v_mul_f32_e64 v5, -v57, s6                                 // 000000009E94: D1050005 20000D39
	v_mul_f32_e64 v6, -v58, s6                                 // 000000009E9C: D1050006 20000D3A
	v_mul_f32_e64 v7, -v59, s6                                 // 000000009EA4: D1050007 20000D3B
	v_exp_f32_e32 v4, v4                                       // 000000009EAC: 7E084104
	v_exp_f32_e32 v5, v5                                       // 000000009EB0: 7E0A4105
	v_exp_f32_e32 v6, v6                                       // 000000009EB4: 7E0C4106
	v_exp_f32_e32 v7, v7                                       // 000000009EB8: 7E0E4107
	v_add_f32_e64 v4, v4, 1.0                                  // 000000009EBC: D1010004 0001E504
	v_add_f32_e64 v5, v5, 1.0                                  // 000000009EC4: D1010005 0001E505
	v_add_f32_e64 v6, v6, 1.0                                  // 000000009ECC: D1010006 0001E506
	v_add_f32_e64 v7, v7, 1.0                                  // 000000009ED4: D1010007 0001E507
	v_rcp_f32_e32 v4, v4                                       // 000000009EDC: 7E084504
	v_rcp_f32_e32 v5, v5                                       // 000000009EE0: 7E0A4505
	v_rcp_f32_e32 v6, v6                                       // 000000009EE4: 7E0C4506
	v_rcp_f32_e32 v7, v7                                       // 000000009EE8: 7E0E4507
	v_mul_f32_e32 v56, v56, v4                                 // 000000009EEC: 0A700938
	v_mul_f32_e32 v57, v57, v5                                 // 000000009EF0: 0A720B39
	v_mul_f32_e32 v58, v58, v6                                 // 000000009EF4: 0A740D3A
	v_mul_f32_e32 v59, v59, v7                                 // 000000009EF8: 0A760F3B
	v_mul_f32_e32 v56, v56, v152                               // 000000009EFC: 0A713138
	v_mul_f32_e32 v57, v57, v153                               // 000000009F00: 0A733339
	v_mul_f32_e32 v58, v58, v154                               // 000000009F04: 0A75353A
	v_mul_f32_e32 v59, v59, v155                               // 000000009F08: 0A77373B
	v_mul_f32_e64 v4, -v60, s6                                 // 000000009F0C: D1050004 20000D3C
	v_mul_f32_e64 v5, -v61, s6                                 // 000000009F14: D1050005 20000D3D
	v_mul_f32_e64 v6, -v62, s6                                 // 000000009F1C: D1050006 20000D3E
	v_mul_f32_e64 v7, -v63, s6                                 // 000000009F24: D1050007 20000D3F
	v_exp_f32_e32 v4, v4                                       // 000000009F2C: 7E084104
	v_exp_f32_e32 v5, v5                                       // 000000009F30: 7E0A4105
	v_exp_f32_e32 v6, v6                                       // 000000009F34: 7E0C4106
	v_exp_f32_e32 v7, v7                                       // 000000009F38: 7E0E4107
	v_add_f32_e64 v4, v4, 1.0                                  // 000000009F3C: D1010004 0001E504
	v_add_f32_e64 v5, v5, 1.0                                  // 000000009F44: D1010005 0001E505
	v_add_f32_e64 v6, v6, 1.0                                  // 000000009F4C: D1010006 0001E506
	v_add_f32_e64 v7, v7, 1.0                                  // 000000009F54: D1010007 0001E507
	v_rcp_f32_e32 v4, v4                                       // 000000009F5C: 7E084504
	v_rcp_f32_e32 v5, v5                                       // 000000009F60: 7E0A4505
	v_rcp_f32_e32 v6, v6                                       // 000000009F64: 7E0C4506
	v_rcp_f32_e32 v7, v7                                       // 000000009F68: 7E0E4507
	v_mul_f32_e32 v60, v60, v4                                 // 000000009F6C: 0A78093C
	v_mul_f32_e32 v61, v61, v5                                 // 000000009F70: 0A7A0B3D
	v_mul_f32_e32 v62, v62, v6                                 // 000000009F74: 0A7C0D3E
	v_mul_f32_e32 v63, v63, v7                                 // 000000009F78: 0A7E0F3F
	v_mul_f32_e32 v60, v60, v156                               // 000000009F7C: 0A79393C
	v_mul_f32_e32 v61, v61, v157                               // 000000009F80: 0A7B3B3D
	v_mul_f32_e32 v62, v62, v158                               // 000000009F84: 0A7D3D3E
	v_mul_f32_e32 v63, v63, v159                               // 000000009F88: 0A7F3F3F
	v_mul_f32_e64 v4, -v64, s6                                 // 000000009F8C: D1050004 20000D40
	v_mul_f32_e64 v5, -v65, s6                                 // 000000009F94: D1050005 20000D41
	v_mul_f32_e64 v6, -v66, s6                                 // 000000009F9C: D1050006 20000D42
	v_mul_f32_e64 v7, -v67, s6                                 // 000000009FA4: D1050007 20000D43
	v_exp_f32_e32 v4, v4                                       // 000000009FAC: 7E084104
	v_exp_f32_e32 v5, v5                                       // 000000009FB0: 7E0A4105
	v_exp_f32_e32 v6, v6                                       // 000000009FB4: 7E0C4106
	v_exp_f32_e32 v7, v7                                       // 000000009FB8: 7E0E4107
	v_add_f32_e64 v4, v4, 1.0                                  // 000000009FBC: D1010004 0001E504
	v_add_f32_e64 v5, v5, 1.0                                  // 000000009FC4: D1010005 0001E505
	v_add_f32_e64 v6, v6, 1.0                                  // 000000009FCC: D1010006 0001E506
	v_add_f32_e64 v7, v7, 1.0                                  // 000000009FD4: D1010007 0001E507
	v_rcp_f32_e32 v4, v4                                       // 000000009FDC: 7E084504
	v_rcp_f32_e32 v5, v5                                       // 000000009FE0: 7E0A4505
	v_rcp_f32_e32 v6, v6                                       // 000000009FE4: 7E0C4506
	v_rcp_f32_e32 v7, v7                                       // 000000009FE8: 7E0E4507
	v_mul_f32_e32 v64, v64, v4                                 // 000000009FEC: 0A800940
	v_mul_f32_e32 v65, v65, v5                                 // 000000009FF0: 0A820B41
	v_mul_f32_e32 v66, v66, v6                                 // 000000009FF4: 0A840D42
	v_mul_f32_e32 v67, v67, v7                                 // 000000009FF8: 0A860F43
	v_mul_f32_e32 v64, v64, v160                               // 000000009FFC: 0A814140
	v_mul_f32_e32 v65, v65, v161                               // 00000000A000: 0A834341
	v_mul_f32_e32 v66, v66, v162                               // 00000000A004: 0A854542
	v_mul_f32_e32 v67, v67, v163                               // 00000000A008: 0A874743
	v_mul_f32_e64 v4, -v68, s6                                 // 00000000A00C: D1050004 20000D44
	v_mul_f32_e64 v5, -v69, s6                                 // 00000000A014: D1050005 20000D45
	v_mul_f32_e64 v6, -v70, s6                                 // 00000000A01C: D1050006 20000D46
	v_mul_f32_e64 v7, -v71, s6                                 // 00000000A024: D1050007 20000D47
	v_exp_f32_e32 v4, v4                                       // 00000000A02C: 7E084104
	v_exp_f32_e32 v5, v5                                       // 00000000A030: 7E0A4105
	v_exp_f32_e32 v6, v6                                       // 00000000A034: 7E0C4106
	v_exp_f32_e32 v7, v7                                       // 00000000A038: 7E0E4107
	v_add_f32_e64 v4, v4, 1.0                                  // 00000000A03C: D1010004 0001E504
	v_add_f32_e64 v5, v5, 1.0                                  // 00000000A044: D1010005 0001E505
	v_add_f32_e64 v6, v6, 1.0                                  // 00000000A04C: D1010006 0001E506
	v_add_f32_e64 v7, v7, 1.0                                  // 00000000A054: D1010007 0001E507
	v_rcp_f32_e32 v4, v4                                       // 00000000A05C: 7E084504
	v_rcp_f32_e32 v5, v5                                       // 00000000A060: 7E0A4505
	v_rcp_f32_e32 v6, v6                                       // 00000000A064: 7E0C4506
	v_rcp_f32_e32 v7, v7                                       // 00000000A068: 7E0E4507
	v_mul_f32_e32 v68, v68, v4                                 // 00000000A06C: 0A880944
	v_mul_f32_e32 v69, v69, v5                                 // 00000000A070: 0A8A0B45
	v_mul_f32_e32 v70, v70, v6                                 // 00000000A074: 0A8C0D46
	v_mul_f32_e32 v71, v71, v7                                 // 00000000A078: 0A8E0F47
	v_mul_f32_e32 v68, v68, v164                               // 00000000A07C: 0A894944
	v_mul_f32_e32 v69, v69, v165                               // 00000000A080: 0A8B4B45
	v_mul_f32_e32 v70, v70, v166                               // 00000000A084: 0A8D4D46
	v_mul_f32_e32 v71, v71, v167                               // 00000000A088: 0A8F4F47
	v_mul_f32_e64 v4, -v72, s6                                 // 00000000A08C: D1050004 20000D48
	v_mul_f32_e64 v5, -v73, s6                                 // 00000000A094: D1050005 20000D49
	v_mul_f32_e64 v6, -v74, s6                                 // 00000000A09C: D1050006 20000D4A
	v_mul_f32_e64 v7, -v75, s6                                 // 00000000A0A4: D1050007 20000D4B
	v_exp_f32_e32 v4, v4                                       // 00000000A0AC: 7E084104
	v_exp_f32_e32 v5, v5                                       // 00000000A0B0: 7E0A4105
	v_exp_f32_e32 v6, v6                                       // 00000000A0B4: 7E0C4106
	v_exp_f32_e32 v7, v7                                       // 00000000A0B8: 7E0E4107
	v_add_f32_e64 v4, v4, 1.0                                  // 00000000A0BC: D1010004 0001E504
	v_add_f32_e64 v5, v5, 1.0                                  // 00000000A0C4: D1010005 0001E505
	v_add_f32_e64 v6, v6, 1.0                                  // 00000000A0CC: D1010006 0001E506
	v_add_f32_e64 v7, v7, 1.0                                  // 00000000A0D4: D1010007 0001E507
	v_rcp_f32_e32 v4, v4                                       // 00000000A0DC: 7E084504
	v_rcp_f32_e32 v5, v5                                       // 00000000A0E0: 7E0A4505
	v_rcp_f32_e32 v6, v6                                       // 00000000A0E4: 7E0C4506
	v_rcp_f32_e32 v7, v7                                       // 00000000A0E8: 7E0E4507
	v_mul_f32_e32 v72, v72, v4                                 // 00000000A0EC: 0A900948
	v_mul_f32_e32 v73, v73, v5                                 // 00000000A0F0: 0A920B49
	v_mul_f32_e32 v74, v74, v6                                 // 00000000A0F4: 0A940D4A
	v_mul_f32_e32 v75, v75, v7                                 // 00000000A0F8: 0A960F4B
	v_mul_f32_e32 v72, v72, v168                               // 00000000A0FC: 0A915148
	v_mul_f32_e32 v73, v73, v169                               // 00000000A100: 0A935349
	v_mul_f32_e32 v74, v74, v170                               // 00000000A104: 0A95554A
	v_mul_f32_e32 v75, v75, v171                               // 00000000A108: 0A97574B
	v_mul_f32_e64 v4, -v76, s6                                 // 00000000A10C: D1050004 20000D4C
	v_mul_f32_e64 v5, -v77, s6                                 // 00000000A114: D1050005 20000D4D
	v_mul_f32_e64 v6, -v78, s6                                 // 00000000A11C: D1050006 20000D4E
	v_mul_f32_e64 v7, -v79, s6                                 // 00000000A124: D1050007 20000D4F
	v_exp_f32_e32 v4, v4                                       // 00000000A12C: 7E084104
	v_exp_f32_e32 v5, v5                                       // 00000000A130: 7E0A4105
	v_exp_f32_e32 v6, v6                                       // 00000000A134: 7E0C4106
	v_exp_f32_e32 v7, v7                                       // 00000000A138: 7E0E4107
	v_add_f32_e64 v4, v4, 1.0                                  // 00000000A13C: D1010004 0001E504
	v_add_f32_e64 v5, v5, 1.0                                  // 00000000A144: D1010005 0001E505
	v_add_f32_e64 v6, v6, 1.0                                  // 00000000A14C: D1010006 0001E506
	v_add_f32_e64 v7, v7, 1.0                                  // 00000000A154: D1010007 0001E507
	v_rcp_f32_e32 v4, v4                                       // 00000000A15C: 7E084504
	v_rcp_f32_e32 v5, v5                                       // 00000000A160: 7E0A4505
	v_rcp_f32_e32 v6, v6                                       // 00000000A164: 7E0C4506
	v_rcp_f32_e32 v7, v7                                       // 00000000A168: 7E0E4507
	v_mul_f32_e32 v76, v76, v4                                 // 00000000A16C: 0A98094C
	v_mul_f32_e32 v77, v77, v5                                 // 00000000A170: 0A9A0B4D
	v_mul_f32_e32 v78, v78, v6                                 // 00000000A174: 0A9C0D4E
	v_mul_f32_e32 v79, v79, v7                                 // 00000000A178: 0A9E0F4F
	v_mul_f32_e32 v76, v76, v172                               // 00000000A17C: 0A99594C
	v_mul_f32_e32 v77, v77, v173                               // 00000000A180: 0A9B5B4D
	v_mul_f32_e32 v78, v78, v174                               // 00000000A184: 0A9D5D4E
	v_mul_f32_e32 v79, v79, v175                               // 00000000A188: 0A9F5F4F
	v_mul_f32_e64 v4, -v80, s6                                 // 00000000A18C: D1050004 20000D50
	v_mul_f32_e64 v5, -v81, s6                                 // 00000000A194: D1050005 20000D51
	v_mul_f32_e64 v6, -v82, s6                                 // 00000000A19C: D1050006 20000D52
	v_mul_f32_e64 v7, -v83, s6                                 // 00000000A1A4: D1050007 20000D53
	v_exp_f32_e32 v4, v4                                       // 00000000A1AC: 7E084104
	v_exp_f32_e32 v5, v5                                       // 00000000A1B0: 7E0A4105
	v_exp_f32_e32 v6, v6                                       // 00000000A1B4: 7E0C4106
	v_exp_f32_e32 v7, v7                                       // 00000000A1B8: 7E0E4107
	v_add_f32_e64 v4, v4, 1.0                                  // 00000000A1BC: D1010004 0001E504
	v_add_f32_e64 v5, v5, 1.0                                  // 00000000A1C4: D1010005 0001E505
	v_add_f32_e64 v6, v6, 1.0                                  // 00000000A1CC: D1010006 0001E506
	v_add_f32_e64 v7, v7, 1.0                                  // 00000000A1D4: D1010007 0001E507
	v_rcp_f32_e32 v4, v4                                       // 00000000A1DC: 7E084504
	v_rcp_f32_e32 v5, v5                                       // 00000000A1E0: 7E0A4505
	v_rcp_f32_e32 v6, v6                                       // 00000000A1E4: 7E0C4506
	v_rcp_f32_e32 v7, v7                                       // 00000000A1E8: 7E0E4507
	v_mul_f32_e32 v80, v80, v4                                 // 00000000A1EC: 0AA00950
	v_mul_f32_e32 v81, v81, v5                                 // 00000000A1F0: 0AA20B51
	v_mul_f32_e32 v82, v82, v6                                 // 00000000A1F4: 0AA40D52
	v_mul_f32_e32 v83, v83, v7                                 // 00000000A1F8: 0AA60F53
	v_mul_f32_e32 v80, v80, v176                               // 00000000A1FC: 0AA16150
	v_mul_f32_e32 v81, v81, v177                               // 00000000A200: 0AA36351
	v_mul_f32_e32 v82, v82, v178                               // 00000000A204: 0AA56552
	v_mul_f32_e32 v83, v83, v179                               // 00000000A208: 0AA76753
	v_mul_f32_e64 v4, -v84, s6                                 // 00000000A20C: D1050004 20000D54
	v_mul_f32_e64 v5, -v85, s6                                 // 00000000A214: D1050005 20000D55
	v_mul_f32_e64 v6, -v86, s6                                 // 00000000A21C: D1050006 20000D56
	v_mul_f32_e64 v7, -v87, s6                                 // 00000000A224: D1050007 20000D57
	v_exp_f32_e32 v4, v4                                       // 00000000A22C: 7E084104
	v_exp_f32_e32 v5, v5                                       // 00000000A230: 7E0A4105
	v_exp_f32_e32 v6, v6                                       // 00000000A234: 7E0C4106
	v_exp_f32_e32 v7, v7                                       // 00000000A238: 7E0E4107
	v_add_f32_e64 v4, v4, 1.0                                  // 00000000A23C: D1010004 0001E504
	v_add_f32_e64 v5, v5, 1.0                                  // 00000000A244: D1010005 0001E505
	v_add_f32_e64 v6, v6, 1.0                                  // 00000000A24C: D1010006 0001E506
	v_add_f32_e64 v7, v7, 1.0                                  // 00000000A254: D1010007 0001E507
	v_rcp_f32_e32 v4, v4                                       // 00000000A25C: 7E084504
	v_rcp_f32_e32 v5, v5                                       // 00000000A260: 7E0A4505
	v_rcp_f32_e32 v6, v6                                       // 00000000A264: 7E0C4506
	v_rcp_f32_e32 v7, v7                                       // 00000000A268: 7E0E4507
	v_mul_f32_e32 v84, v84, v4                                 // 00000000A26C: 0AA80954
	v_mul_f32_e32 v85, v85, v5                                 // 00000000A270: 0AAA0B55
	v_mul_f32_e32 v86, v86, v6                                 // 00000000A274: 0AAC0D56
	v_mul_f32_e32 v87, v87, v7                                 // 00000000A278: 0AAE0F57
	v_mul_f32_e32 v84, v84, v180                               // 00000000A27C: 0AA96954
	v_mul_f32_e32 v85, v85, v181                               // 00000000A280: 0AAB6B55
	v_mul_f32_e32 v86, v86, v182                               // 00000000A284: 0AAD6D56
	v_mul_f32_e32 v87, v87, v183                               // 00000000A288: 0AAF6F57
	v_mul_f32_e64 v4, -v88, s6                                 // 00000000A28C: D1050004 20000D58
	v_mul_f32_e64 v5, -v89, s6                                 // 00000000A294: D1050005 20000D59
	v_mul_f32_e64 v6, -v90, s6                                 // 00000000A29C: D1050006 20000D5A
	v_mul_f32_e64 v7, -v91, s6                                 // 00000000A2A4: D1050007 20000D5B
	v_exp_f32_e32 v4, v4                                       // 00000000A2AC: 7E084104
	v_exp_f32_e32 v5, v5                                       // 00000000A2B0: 7E0A4105
	v_exp_f32_e32 v6, v6                                       // 00000000A2B4: 7E0C4106
	v_exp_f32_e32 v7, v7                                       // 00000000A2B8: 7E0E4107
	v_add_f32_e64 v4, v4, 1.0                                  // 00000000A2BC: D1010004 0001E504
	v_add_f32_e64 v5, v5, 1.0                                  // 00000000A2C4: D1010005 0001E505
	v_add_f32_e64 v6, v6, 1.0                                  // 00000000A2CC: D1010006 0001E506
	v_add_f32_e64 v7, v7, 1.0                                  // 00000000A2D4: D1010007 0001E507
	v_rcp_f32_e32 v4, v4                                       // 00000000A2DC: 7E084504
	v_rcp_f32_e32 v5, v5                                       // 00000000A2E0: 7E0A4505
	v_rcp_f32_e32 v6, v6                                       // 00000000A2E4: 7E0C4506
	v_rcp_f32_e32 v7, v7                                       // 00000000A2E8: 7E0E4507
	v_mul_f32_e32 v88, v88, v4                                 // 00000000A2EC: 0AB00958
	v_mul_f32_e32 v89, v89, v5                                 // 00000000A2F0: 0AB20B59
	v_mul_f32_e32 v90, v90, v6                                 // 00000000A2F4: 0AB40D5A
	v_mul_f32_e32 v91, v91, v7                                 // 00000000A2F8: 0AB60F5B
	v_mul_f32_e32 v88, v88, v184                               // 00000000A2FC: 0AB17158
	v_mul_f32_e32 v89, v89, v185                               // 00000000A300: 0AB37359
	v_mul_f32_e32 v90, v90, v186                               // 00000000A304: 0AB5755A
	v_mul_f32_e32 v91, v91, v187                               // 00000000A308: 0AB7775B
	v_mul_f32_e64 v4, -v92, s6                                 // 00000000A30C: D1050004 20000D5C
	v_mul_f32_e64 v5, -v93, s6                                 // 00000000A314: D1050005 20000D5D
	v_mul_f32_e64 v6, -v94, s6                                 // 00000000A31C: D1050006 20000D5E
	v_mul_f32_e64 v7, -v95, s6                                 // 00000000A324: D1050007 20000D5F
	v_exp_f32_e32 v4, v4                                       // 00000000A32C: 7E084104
	v_exp_f32_e32 v5, v5                                       // 00000000A330: 7E0A4105
	v_exp_f32_e32 v6, v6                                       // 00000000A334: 7E0C4106
	v_exp_f32_e32 v7, v7                                       // 00000000A338: 7E0E4107
	v_add_f32_e64 v4, v4, 1.0                                  // 00000000A33C: D1010004 0001E504
	v_add_f32_e64 v5, v5, 1.0                                  // 00000000A344: D1010005 0001E505
	v_add_f32_e64 v6, v6, 1.0                                  // 00000000A34C: D1010006 0001E506
	v_add_f32_e64 v7, v7, 1.0                                  // 00000000A354: D1010007 0001E507
	v_rcp_f32_e32 v4, v4                                       // 00000000A35C: 7E084504
	v_rcp_f32_e32 v5, v5                                       // 00000000A360: 7E0A4505
	v_rcp_f32_e32 v6, v6                                       // 00000000A364: 7E0C4506
	v_rcp_f32_e32 v7, v7                                       // 00000000A368: 7E0E4507
	v_mul_f32_e32 v92, v92, v4                                 // 00000000A36C: 0AB8095C
	v_mul_f32_e32 v93, v93, v5                                 // 00000000A370: 0ABA0B5D
	v_mul_f32_e32 v94, v94, v6                                 // 00000000A374: 0ABC0D5E
	v_mul_f32_e32 v95, v95, v7                                 // 00000000A378: 0ABE0F5F
	v_mul_f32_e32 v92, v92, v188                               // 00000000A37C: 0AB9795C
	v_mul_f32_e32 v93, v93, v189                               // 00000000A380: 0ABB7B5D
	v_mul_f32_e32 v94, v94, v190                               // 00000000A384: 0ABD7D5E
	v_mul_f32_e32 v95, v95, v191                               // 00000000A388: 0ABF7F5F
	v_mul_f32_e64 v4, -v96, s6                                 // 00000000A38C: D1050004 20000D60
	v_mul_f32_e64 v5, -v97, s6                                 // 00000000A394: D1050005 20000D61
	v_mul_f32_e64 v6, -v98, s6                                 // 00000000A39C: D1050006 20000D62
	v_mul_f32_e64 v7, -v99, s6                                 // 00000000A3A4: D1050007 20000D63
	v_exp_f32_e32 v4, v4                                       // 00000000A3AC: 7E084104
	v_exp_f32_e32 v5, v5                                       // 00000000A3B0: 7E0A4105
	v_exp_f32_e32 v6, v6                                       // 00000000A3B4: 7E0C4106
	v_exp_f32_e32 v7, v7                                       // 00000000A3B8: 7E0E4107
	v_add_f32_e64 v4, v4, 1.0                                  // 00000000A3BC: D1010004 0001E504
	v_add_f32_e64 v5, v5, 1.0                                  // 00000000A3C4: D1010005 0001E505
	v_add_f32_e64 v6, v6, 1.0                                  // 00000000A3CC: D1010006 0001E506
	v_add_f32_e64 v7, v7, 1.0                                  // 00000000A3D4: D1010007 0001E507
	v_rcp_f32_e32 v4, v4                                       // 00000000A3DC: 7E084504
	v_rcp_f32_e32 v5, v5                                       // 00000000A3E0: 7E0A4505
	v_rcp_f32_e32 v6, v6                                       // 00000000A3E4: 7E0C4506
	v_rcp_f32_e32 v7, v7                                       // 00000000A3E8: 7E0E4507
	v_mul_f32_e32 v96, v96, v4                                 // 00000000A3EC: 0AC00960
	v_mul_f32_e32 v97, v97, v5                                 // 00000000A3F0: 0AC20B61
	v_mul_f32_e32 v98, v98, v6                                 // 00000000A3F4: 0AC40D62
	v_mul_f32_e32 v99, v99, v7                                 // 00000000A3F8: 0AC60F63
	v_mul_f32_e32 v96, v96, v192                               // 00000000A3FC: 0AC18160
	v_mul_f32_e32 v97, v97, v193                               // 00000000A400: 0AC38361
	v_mul_f32_e32 v98, v98, v194                               // 00000000A404: 0AC58562
	v_mul_f32_e32 v99, v99, v195                               // 00000000A408: 0AC78763
	v_mul_f32_e64 v4, -v100, s6                                // 00000000A40C: D1050004 20000D64
	v_mul_f32_e64 v5, -v101, s6                                // 00000000A414: D1050005 20000D65
	v_mul_f32_e64 v6, -v102, s6                                // 00000000A41C: D1050006 20000D66
	v_mul_f32_e64 v7, -v103, s6                                // 00000000A424: D1050007 20000D67
	v_exp_f32_e32 v4, v4                                       // 00000000A42C: 7E084104
	v_exp_f32_e32 v5, v5                                       // 00000000A430: 7E0A4105
	v_exp_f32_e32 v6, v6                                       // 00000000A434: 7E0C4106
	v_exp_f32_e32 v7, v7                                       // 00000000A438: 7E0E4107
	v_add_f32_e64 v4, v4, 1.0                                  // 00000000A43C: D1010004 0001E504
	v_add_f32_e64 v5, v5, 1.0                                  // 00000000A444: D1010005 0001E505
	v_add_f32_e64 v6, v6, 1.0                                  // 00000000A44C: D1010006 0001E506
	v_add_f32_e64 v7, v7, 1.0                                  // 00000000A454: D1010007 0001E507
	v_rcp_f32_e32 v4, v4                                       // 00000000A45C: 7E084504
	v_rcp_f32_e32 v5, v5                                       // 00000000A460: 7E0A4505
	v_rcp_f32_e32 v6, v6                                       // 00000000A464: 7E0C4506
	v_rcp_f32_e32 v7, v7                                       // 00000000A468: 7E0E4507
	v_mul_f32_e32 v100, v100, v4                               // 00000000A46C: 0AC80964
	v_mul_f32_e32 v101, v101, v5                               // 00000000A470: 0ACA0B65
	v_mul_f32_e32 v102, v102, v6                               // 00000000A474: 0ACC0D66
	v_mul_f32_e32 v103, v103, v7                               // 00000000A478: 0ACE0F67
	v_mul_f32_e32 v100, v100, v196                             // 00000000A47C: 0AC98964
	v_mul_f32_e32 v101, v101, v197                             // 00000000A480: 0ACB8B65
	v_mul_f32_e32 v102, v102, v198                             // 00000000A484: 0ACD8D66
	v_mul_f32_e32 v103, v103, v199                             // 00000000A488: 0ACF8F67
	v_mul_f32_e64 v4, -v104, s6                                // 00000000A48C: D1050004 20000D68
	v_mul_f32_e64 v5, -v105, s6                                // 00000000A494: D1050005 20000D69
	v_mul_f32_e64 v6, -v106, s6                                // 00000000A49C: D1050006 20000D6A
	v_mul_f32_e64 v7, -v107, s6                                // 00000000A4A4: D1050007 20000D6B
	v_exp_f32_e32 v4, v4                                       // 00000000A4AC: 7E084104
	v_exp_f32_e32 v5, v5                                       // 00000000A4B0: 7E0A4105
	v_exp_f32_e32 v6, v6                                       // 00000000A4B4: 7E0C4106
	v_exp_f32_e32 v7, v7                                       // 00000000A4B8: 7E0E4107
	v_add_f32_e64 v4, v4, 1.0                                  // 00000000A4BC: D1010004 0001E504
	v_add_f32_e64 v5, v5, 1.0                                  // 00000000A4C4: D1010005 0001E505
	v_add_f32_e64 v6, v6, 1.0                                  // 00000000A4CC: D1010006 0001E506
	v_add_f32_e64 v7, v7, 1.0                                  // 00000000A4D4: D1010007 0001E507
	v_rcp_f32_e32 v4, v4                                       // 00000000A4DC: 7E084504
	v_rcp_f32_e32 v5, v5                                       // 00000000A4E0: 7E0A4505
	v_rcp_f32_e32 v6, v6                                       // 00000000A4E4: 7E0C4506
	v_rcp_f32_e32 v7, v7                                       // 00000000A4E8: 7E0E4507
	v_mul_f32_e32 v104, v104, v4                               // 00000000A4EC: 0AD00968
	v_mul_f32_e32 v105, v105, v5                               // 00000000A4F0: 0AD20B69
	v_mul_f32_e32 v106, v106, v6                               // 00000000A4F4: 0AD40D6A
	v_mul_f32_e32 v107, v107, v7                               // 00000000A4F8: 0AD60F6B
	v_mul_f32_e32 v104, v104, v200                             // 00000000A4FC: 0AD19168
	v_mul_f32_e32 v105, v105, v201                             // 00000000A500: 0AD39369
	v_mul_f32_e32 v106, v106, v202                             // 00000000A504: 0AD5956A
	v_mul_f32_e32 v107, v107, v203                             // 00000000A508: 0AD7976B
	v_mul_f32_e64 v4, -v108, s6                                // 00000000A50C: D1050004 20000D6C
	v_mul_f32_e64 v5, -v109, s6                                // 00000000A514: D1050005 20000D6D
	v_mul_f32_e64 v6, -v110, s6                                // 00000000A51C: D1050006 20000D6E
	v_mul_f32_e64 v7, -v111, s6                                // 00000000A524: D1050007 20000D6F
	v_exp_f32_e32 v4, v4                                       // 00000000A52C: 7E084104
	v_exp_f32_e32 v5, v5                                       // 00000000A530: 7E0A4105
	v_exp_f32_e32 v6, v6                                       // 00000000A534: 7E0C4106
	v_exp_f32_e32 v7, v7                                       // 00000000A538: 7E0E4107
	v_add_f32_e64 v4, v4, 1.0                                  // 00000000A53C: D1010004 0001E504
	v_add_f32_e64 v5, v5, 1.0                                  // 00000000A544: D1010005 0001E505
	v_add_f32_e64 v6, v6, 1.0                                  // 00000000A54C: D1010006 0001E506
	v_add_f32_e64 v7, v7, 1.0                                  // 00000000A554: D1010007 0001E507
	v_rcp_f32_e32 v4, v4                                       // 00000000A55C: 7E084504
	v_rcp_f32_e32 v5, v5                                       // 00000000A560: 7E0A4505
	v_rcp_f32_e32 v6, v6                                       // 00000000A564: 7E0C4506
	v_rcp_f32_e32 v7, v7                                       // 00000000A568: 7E0E4507
	v_mul_f32_e32 v108, v108, v4                               // 00000000A56C: 0AD8096C
	v_mul_f32_e32 v109, v109, v5                               // 00000000A570: 0ADA0B6D
	v_mul_f32_e32 v110, v110, v6                               // 00000000A574: 0ADC0D6E
	v_mul_f32_e32 v111, v111, v7                               // 00000000A578: 0ADE0F6F
	v_mul_f32_e32 v108, v108, v204                             // 00000000A57C: 0AD9996C
	v_mul_f32_e32 v109, v109, v205                             // 00000000A580: 0ADB9B6D
	v_mul_f32_e32 v110, v110, v206                             // 00000000A584: 0ADD9D6E
	v_mul_f32_e32 v111, v111, v207                             // 00000000A588: 0ADF9F6F
	v_mul_f32_e64 v4, -v112, s6                                // 00000000A58C: D1050004 20000D70
	v_mul_f32_e64 v5, -v113, s6                                // 00000000A594: D1050005 20000D71
	v_mul_f32_e64 v6, -v114, s6                                // 00000000A59C: D1050006 20000D72
	v_mul_f32_e64 v7, -v115, s6                                // 00000000A5A4: D1050007 20000D73
	v_exp_f32_e32 v4, v4                                       // 00000000A5AC: 7E084104
	v_exp_f32_e32 v5, v5                                       // 00000000A5B0: 7E0A4105
	v_exp_f32_e32 v6, v6                                       // 00000000A5B4: 7E0C4106
	v_exp_f32_e32 v7, v7                                       // 00000000A5B8: 7E0E4107
	v_add_f32_e64 v4, v4, 1.0                                  // 00000000A5BC: D1010004 0001E504
	v_add_f32_e64 v5, v5, 1.0                                  // 00000000A5C4: D1010005 0001E505
	v_add_f32_e64 v6, v6, 1.0                                  // 00000000A5CC: D1010006 0001E506
	v_add_f32_e64 v7, v7, 1.0                                  // 00000000A5D4: D1010007 0001E507
	v_rcp_f32_e32 v4, v4                                       // 00000000A5DC: 7E084504
	v_rcp_f32_e32 v5, v5                                       // 00000000A5E0: 7E0A4505
	v_rcp_f32_e32 v6, v6                                       // 00000000A5E4: 7E0C4506
	v_rcp_f32_e32 v7, v7                                       // 00000000A5E8: 7E0E4507
	v_mul_f32_e32 v112, v112, v4                               // 00000000A5EC: 0AE00970
	v_mul_f32_e32 v113, v113, v5                               // 00000000A5F0: 0AE20B71
	v_mul_f32_e32 v114, v114, v6                               // 00000000A5F4: 0AE40D72
	v_mul_f32_e32 v115, v115, v7                               // 00000000A5F8: 0AE60F73
	v_mul_f32_e32 v112, v112, v208                             // 00000000A5FC: 0AE1A170
	v_mul_f32_e32 v113, v113, v209                             // 00000000A600: 0AE3A371
	v_mul_f32_e32 v114, v114, v210                             // 00000000A604: 0AE5A572
	v_mul_f32_e32 v115, v115, v211                             // 00000000A608: 0AE7A773
	v_mul_f32_e64 v4, -v116, s6                                // 00000000A60C: D1050004 20000D74
	v_mul_f32_e64 v5, -v117, s6                                // 00000000A614: D1050005 20000D75
	v_mul_f32_e64 v6, -v118, s6                                // 00000000A61C: D1050006 20000D76
	v_mul_f32_e64 v7, -v119, s6                                // 00000000A624: D1050007 20000D77
	v_exp_f32_e32 v4, v4                                       // 00000000A62C: 7E084104
	v_exp_f32_e32 v5, v5                                       // 00000000A630: 7E0A4105
	v_exp_f32_e32 v6, v6                                       // 00000000A634: 7E0C4106
	v_exp_f32_e32 v7, v7                                       // 00000000A638: 7E0E4107
	v_add_f32_e64 v4, v4, 1.0                                  // 00000000A63C: D1010004 0001E504
	v_add_f32_e64 v5, v5, 1.0                                  // 00000000A644: D1010005 0001E505
	v_add_f32_e64 v6, v6, 1.0                                  // 00000000A64C: D1010006 0001E506
	v_add_f32_e64 v7, v7, 1.0                                  // 00000000A654: D1010007 0001E507
	v_rcp_f32_e32 v4, v4                                       // 00000000A65C: 7E084504
	v_rcp_f32_e32 v5, v5                                       // 00000000A660: 7E0A4505
	v_rcp_f32_e32 v6, v6                                       // 00000000A664: 7E0C4506
	v_rcp_f32_e32 v7, v7                                       // 00000000A668: 7E0E4507
	v_mul_f32_e32 v116, v116, v4                               // 00000000A66C: 0AE80974
	v_mul_f32_e32 v117, v117, v5                               // 00000000A670: 0AEA0B75
	v_mul_f32_e32 v118, v118, v6                               // 00000000A674: 0AEC0D76
	v_mul_f32_e32 v119, v119, v7                               // 00000000A678: 0AEE0F77
	v_mul_f32_e32 v116, v116, v212                             // 00000000A67C: 0AE9A974
	v_mul_f32_e32 v117, v117, v213                             // 00000000A680: 0AEBAB75
	v_mul_f32_e32 v118, v118, v214                             // 00000000A684: 0AEDAD76
	v_mul_f32_e32 v119, v119, v215                             // 00000000A688: 0AEFAF77
	v_mul_f32_e64 v4, -v120, s6                                // 00000000A68C: D1050004 20000D78
	v_mul_f32_e64 v5, -v121, s6                                // 00000000A694: D1050005 20000D79
	v_mul_f32_e64 v6, -v122, s6                                // 00000000A69C: D1050006 20000D7A
	v_mul_f32_e64 v7, -v123, s6                                // 00000000A6A4: D1050007 20000D7B
	v_exp_f32_e32 v4, v4                                       // 00000000A6AC: 7E084104
	v_exp_f32_e32 v5, v5                                       // 00000000A6B0: 7E0A4105
	v_exp_f32_e32 v6, v6                                       // 00000000A6B4: 7E0C4106
	v_exp_f32_e32 v7, v7                                       // 00000000A6B8: 7E0E4107
	v_add_f32_e64 v4, v4, 1.0                                  // 00000000A6BC: D1010004 0001E504
	v_add_f32_e64 v5, v5, 1.0                                  // 00000000A6C4: D1010005 0001E505
	v_add_f32_e64 v6, v6, 1.0                                  // 00000000A6CC: D1010006 0001E506
	v_add_f32_e64 v7, v7, 1.0                                  // 00000000A6D4: D1010007 0001E507
	v_rcp_f32_e32 v4, v4                                       // 00000000A6DC: 7E084504
	v_rcp_f32_e32 v5, v5                                       // 00000000A6E0: 7E0A4505
	v_rcp_f32_e32 v6, v6                                       // 00000000A6E4: 7E0C4506
	v_rcp_f32_e32 v7, v7                                       // 00000000A6E8: 7E0E4507
	v_mul_f32_e32 v120, v120, v4                               // 00000000A6EC: 0AF00978
	v_mul_f32_e32 v121, v121, v5                               // 00000000A6F0: 0AF20B79
	v_mul_f32_e32 v122, v122, v6                               // 00000000A6F4: 0AF40D7A
	v_mul_f32_e32 v123, v123, v7                               // 00000000A6F8: 0AF60F7B
	v_mul_f32_e32 v120, v120, v216                             // 00000000A6FC: 0AF1B178
	v_mul_f32_e32 v121, v121, v217                             // 00000000A700: 0AF3B379
	v_mul_f32_e32 v122, v122, v218                             // 00000000A704: 0AF5B57A
	v_mul_f32_e32 v123, v123, v219                             // 00000000A708: 0AF7B77B
	v_mul_f32_e64 v4, -v124, s6                                // 00000000A70C: D1050004 20000D7C
	v_mul_f32_e64 v5, -v125, s6                                // 00000000A714: D1050005 20000D7D
	v_mul_f32_e64 v6, -v126, s6                                // 00000000A71C: D1050006 20000D7E
	v_mul_f32_e64 v7, -v127, s6                                // 00000000A724: D1050007 20000D7F
	v_exp_f32_e32 v4, v4                                       // 00000000A72C: 7E084104
	v_exp_f32_e32 v5, v5                                       // 00000000A730: 7E0A4105
	v_exp_f32_e32 v6, v6                                       // 00000000A734: 7E0C4106
	v_exp_f32_e32 v7, v7                                       // 00000000A738: 7E0E4107
	v_add_f32_e64 v4, v4, 1.0                                  // 00000000A73C: D1010004 0001E504
	v_add_f32_e64 v5, v5, 1.0                                  // 00000000A744: D1010005 0001E505
	v_add_f32_e64 v6, v6, 1.0                                  // 00000000A74C: D1010006 0001E506
	v_add_f32_e64 v7, v7, 1.0                                  // 00000000A754: D1010007 0001E507
	v_rcp_f32_e32 v4, v4                                       // 00000000A75C: 7E084504
	v_rcp_f32_e32 v5, v5                                       // 00000000A760: 7E0A4505
	v_rcp_f32_e32 v6, v6                                       // 00000000A764: 7E0C4506
	v_rcp_f32_e32 v7, v7                                       // 00000000A768: 7E0E4507
	v_mul_f32_e32 v124, v124, v4                               // 00000000A76C: 0AF8097C
	v_mul_f32_e32 v125, v125, v5                               // 00000000A770: 0AFA0B7D
	v_mul_f32_e32 v126, v126, v6                               // 00000000A774: 0AFC0D7E
	v_mul_f32_e32 v127, v127, v7                               // 00000000A778: 0AFE0F7F
	v_mul_f32_e32 v124, v124, v220                             // 00000000A77C: 0AF9B97C
	v_mul_f32_e32 v125, v125, v221                             // 00000000A780: 0AFBBB7D
	v_mul_f32_e32 v126, v126, v222                             // 00000000A784: 0AFDBD7E
	v_mul_f32_e32 v127, v127, v223                             // 00000000A788: 0AFFBF7F
	v_mul_f32_e64 v4, -v128, s6                                // 00000000A78C: D1050004 20000D80
	v_mul_f32_e64 v5, -v129, s6                                // 00000000A794: D1050005 20000D81
	v_mul_f32_e64 v6, -v130, s6                                // 00000000A79C: D1050006 20000D82
	v_mul_f32_e64 v7, -v131, s6                                // 00000000A7A4: D1050007 20000D83
	v_exp_f32_e32 v4, v4                                       // 00000000A7AC: 7E084104
	v_exp_f32_e32 v5, v5                                       // 00000000A7B0: 7E0A4105
	v_exp_f32_e32 v6, v6                                       // 00000000A7B4: 7E0C4106
	v_exp_f32_e32 v7, v7                                       // 00000000A7B8: 7E0E4107
	v_add_f32_e64 v4, v4, 1.0                                  // 00000000A7BC: D1010004 0001E504
	v_add_f32_e64 v5, v5, 1.0                                  // 00000000A7C4: D1010005 0001E505
	v_add_f32_e64 v6, v6, 1.0                                  // 00000000A7CC: D1010006 0001E506
	v_add_f32_e64 v7, v7, 1.0                                  // 00000000A7D4: D1010007 0001E507
	v_rcp_f32_e32 v4, v4                                       // 00000000A7DC: 7E084504
	v_rcp_f32_e32 v5, v5                                       // 00000000A7E0: 7E0A4505
	v_rcp_f32_e32 v6, v6                                       // 00000000A7E4: 7E0C4506
	v_rcp_f32_e32 v7, v7                                       // 00000000A7E8: 7E0E4507
	v_mul_f32_e32 v128, v128, v4                               // 00000000A7EC: 0B000980
	v_mul_f32_e32 v129, v129, v5                               // 00000000A7F0: 0B020B81
	v_mul_f32_e32 v130, v130, v6                               // 00000000A7F4: 0B040D82
	v_mul_f32_e32 v131, v131, v7                               // 00000000A7F8: 0B060F83
	v_mul_f32_e32 v128, v128, v224                             // 00000000A7FC: 0B01C180
	v_mul_f32_e32 v129, v129, v225                             // 00000000A800: 0B03C381
	v_mul_f32_e32 v130, v130, v226                             // 00000000A804: 0B05C582
	v_mul_f32_e32 v131, v131, v227                             // 00000000A808: 0B07C783
	v_mul_f32_e64 v4, -v132, s6                                // 00000000A80C: D1050004 20000D84
	v_mul_f32_e64 v5, -v133, s6                                // 00000000A814: D1050005 20000D85
	v_mul_f32_e64 v6, -v134, s6                                // 00000000A81C: D1050006 20000D86
	v_mul_f32_e64 v7, -v135, s6                                // 00000000A824: D1050007 20000D87
	v_exp_f32_e32 v4, v4                                       // 00000000A82C: 7E084104
	v_exp_f32_e32 v5, v5                                       // 00000000A830: 7E0A4105
	v_exp_f32_e32 v6, v6                                       // 00000000A834: 7E0C4106
	v_exp_f32_e32 v7, v7                                       // 00000000A838: 7E0E4107
	v_add_f32_e64 v4, v4, 1.0                                  // 00000000A83C: D1010004 0001E504
	v_add_f32_e64 v5, v5, 1.0                                  // 00000000A844: D1010005 0001E505
	v_add_f32_e64 v6, v6, 1.0                                  // 00000000A84C: D1010006 0001E506
	v_add_f32_e64 v7, v7, 1.0                                  // 00000000A854: D1010007 0001E507
	v_rcp_f32_e32 v4, v4                                       // 00000000A85C: 7E084504
	v_rcp_f32_e32 v5, v5                                       // 00000000A860: 7E0A4505
	v_rcp_f32_e32 v6, v6                                       // 00000000A864: 7E0C4506
	v_rcp_f32_e32 v7, v7                                       // 00000000A868: 7E0E4507
	v_mul_f32_e32 v132, v132, v4                               // 00000000A86C: 0B080984
	v_mul_f32_e32 v133, v133, v5                               // 00000000A870: 0B0A0B85
	v_mul_f32_e32 v134, v134, v6                               // 00000000A874: 0B0C0D86
	v_mul_f32_e32 v135, v135, v7                               // 00000000A878: 0B0E0F87
	v_mul_f32_e32 v132, v132, v228                             // 00000000A87C: 0B09C984
	v_mul_f32_e32 v133, v133, v229                             // 00000000A880: 0B0BCB85
	v_mul_f32_e32 v134, v134, v230                             // 00000000A884: 0B0DCD86
	v_mul_f32_e32 v135, v135, v231                             // 00000000A888: 0B0FCF87
	v_mul_f32_e64 v4, -v136, s6                                // 00000000A88C: D1050004 20000D88
	v_mul_f32_e64 v5, -v137, s6                                // 00000000A894: D1050005 20000D89
	v_mul_f32_e64 v6, -v138, s6                                // 00000000A89C: D1050006 20000D8A
	v_mul_f32_e64 v7, -v139, s6                                // 00000000A8A4: D1050007 20000D8B
	v_exp_f32_e32 v4, v4                                       // 00000000A8AC: 7E084104
	v_exp_f32_e32 v5, v5                                       // 00000000A8B0: 7E0A4105
	v_exp_f32_e32 v6, v6                                       // 00000000A8B4: 7E0C4106
	v_exp_f32_e32 v7, v7                                       // 00000000A8B8: 7E0E4107
	v_add_f32_e64 v4, v4, 1.0                                  // 00000000A8BC: D1010004 0001E504
	v_add_f32_e64 v5, v5, 1.0                                  // 00000000A8C4: D1010005 0001E505
	v_add_f32_e64 v6, v6, 1.0                                  // 00000000A8CC: D1010006 0001E506
	v_add_f32_e64 v7, v7, 1.0                                  // 00000000A8D4: D1010007 0001E507
	v_rcp_f32_e32 v4, v4                                       // 00000000A8DC: 7E084504
	v_rcp_f32_e32 v5, v5                                       // 00000000A8E0: 7E0A4505
	v_rcp_f32_e32 v6, v6                                       // 00000000A8E4: 7E0C4506
	v_rcp_f32_e32 v7, v7                                       // 00000000A8E8: 7E0E4507
	v_mul_f32_e32 v136, v136, v4                               // 00000000A8EC: 0B100988
	v_mul_f32_e32 v137, v137, v5                               // 00000000A8F0: 0B120B89
	v_mul_f32_e32 v138, v138, v6                               // 00000000A8F4: 0B140D8A
	v_mul_f32_e32 v139, v139, v7                               // 00000000A8F8: 0B160F8B
	v_mul_f32_e32 v136, v136, v232                             // 00000000A8FC: 0B11D188
	v_mul_f32_e32 v137, v137, v233                             // 00000000A900: 0B13D389
	v_mul_f32_e32 v138, v138, v234                             // 00000000A904: 0B15D58A
	v_mul_f32_e32 v139, v139, v235                             // 00000000A908: 0B17D78B
	v_mul_f32_e64 v4, -v140, s6                                // 00000000A90C: D1050004 20000D8C
	v_mul_f32_e64 v5, -v141, s6                                // 00000000A914: D1050005 20000D8D
	v_mul_f32_e64 v6, -v142, s6                                // 00000000A91C: D1050006 20000D8E
	v_mul_f32_e64 v7, -v143, s6                                // 00000000A924: D1050007 20000D8F
	v_exp_f32_e32 v4, v4                                       // 00000000A92C: 7E084104
	v_exp_f32_e32 v5, v5                                       // 00000000A930: 7E0A4105
	v_exp_f32_e32 v6, v6                                       // 00000000A934: 7E0C4106
	v_exp_f32_e32 v7, v7                                       // 00000000A938: 7E0E4107
	v_add_f32_e64 v4, v4, 1.0                                  // 00000000A93C: D1010004 0001E504
	v_add_f32_e64 v5, v5, 1.0                                  // 00000000A944: D1010005 0001E505
	v_add_f32_e64 v6, v6, 1.0                                  // 00000000A94C: D1010006 0001E506
	v_add_f32_e64 v7, v7, 1.0                                  // 00000000A954: D1010007 0001E507
	v_rcp_f32_e32 v4, v4                                       // 00000000A95C: 7E084504
	v_rcp_f32_e32 v5, v5                                       // 00000000A960: 7E0A4505
	v_rcp_f32_e32 v6, v6                                       // 00000000A964: 7E0C4506
	v_rcp_f32_e32 v7, v7                                       // 00000000A968: 7E0E4507
	v_mul_f32_e32 v140, v140, v4                               // 00000000A96C: 0B18098C
	v_mul_f32_e32 v141, v141, v5                               // 00000000A970: 0B1A0B8D
	v_mul_f32_e32 v142, v142, v6                               // 00000000A974: 0B1C0D8E
	v_mul_f32_e32 v143, v143, v7                               // 00000000A978: 0B1E0F8F
	v_mul_f32_e32 v140, v140, v236                             // 00000000A97C: 0B19D98C
	v_mul_f32_e32 v141, v141, v237                             // 00000000A980: 0B1BDB8D
	v_mul_f32_e32 v142, v142, v238                             // 00000000A984: 0B1DDD8E
	v_mul_f32_e32 v143, v143, v239                             // 00000000A988: 0B1FDF8F
	v_mul_f32_e64 v4, -v144, s6                                // 00000000A98C: D1050004 20000D90
	v_mul_f32_e64 v5, -v145, s6                                // 00000000A994: D1050005 20000D91
	v_mul_f32_e64 v6, -v146, s6                                // 00000000A99C: D1050006 20000D92
	v_mul_f32_e64 v7, -v147, s6                                // 00000000A9A4: D1050007 20000D93
	v_exp_f32_e32 v4, v4                                       // 00000000A9AC: 7E084104
	v_exp_f32_e32 v5, v5                                       // 00000000A9B0: 7E0A4105
	v_exp_f32_e32 v6, v6                                       // 00000000A9B4: 7E0C4106
	v_exp_f32_e32 v7, v7                                       // 00000000A9B8: 7E0E4107
	v_add_f32_e64 v4, v4, 1.0                                  // 00000000A9BC: D1010004 0001E504
	v_add_f32_e64 v5, v5, 1.0                                  // 00000000A9C4: D1010005 0001E505
	v_add_f32_e64 v6, v6, 1.0                                  // 00000000A9CC: D1010006 0001E506
	v_add_f32_e64 v7, v7, 1.0                                  // 00000000A9D4: D1010007 0001E507
	v_rcp_f32_e32 v4, v4                                       // 00000000A9DC: 7E084504
	v_rcp_f32_e32 v5, v5                                       // 00000000A9E0: 7E0A4505
	v_rcp_f32_e32 v6, v6                                       // 00000000A9E4: 7E0C4506
	v_rcp_f32_e32 v7, v7                                       // 00000000A9E8: 7E0E4507
	v_mul_f32_e32 v144, v144, v4                               // 00000000A9EC: 0B200990
	v_mul_f32_e32 v145, v145, v5                               // 00000000A9F0: 0B220B91
	v_mul_f32_e32 v146, v146, v6                               // 00000000A9F4: 0B240D92
	v_mul_f32_e32 v147, v147, v7                               // 00000000A9F8: 0B260F93
	v_mul_f32_e32 v144, v144, v240                             // 00000000A9FC: 0B21E190
	v_mul_f32_e32 v145, v145, v241                             // 00000000AA00: 0B23E391
	v_mul_f32_e32 v146, v146, v242                             // 00000000AA04: 0B25E592
	v_mul_f32_e32 v147, v147, v243                             // 00000000AA08: 0B27E793
	v_mul_f32_e64 v4, -v148, s6                                // 00000000AA0C: D1050004 20000D94
	v_mul_f32_e64 v5, -v149, s6                                // 00000000AA14: D1050005 20000D95
	v_mul_f32_e64 v6, -v150, s6                                // 00000000AA1C: D1050006 20000D96
	v_mul_f32_e64 v7, -v151, s6                                // 00000000AA24: D1050007 20000D97
	v_exp_f32_e32 v4, v4                                       // 00000000AA2C: 7E084104
	v_exp_f32_e32 v5, v5                                       // 00000000AA30: 7E0A4105
	v_exp_f32_e32 v6, v6                                       // 00000000AA34: 7E0C4106
	v_exp_f32_e32 v7, v7                                       // 00000000AA38: 7E0E4107
	v_add_f32_e64 v4, v4, 1.0                                  // 00000000AA3C: D1010004 0001E504
	v_add_f32_e64 v5, v5, 1.0                                  // 00000000AA44: D1010005 0001E505
	v_add_f32_e64 v6, v6, 1.0                                  // 00000000AA4C: D1010006 0001E506
	v_add_f32_e64 v7, v7, 1.0                                  // 00000000AA54: D1010007 0001E507
	v_rcp_f32_e32 v4, v4                                       // 00000000AA5C: 7E084504
	v_rcp_f32_e32 v5, v5                                       // 00000000AA60: 7E0A4505
	v_rcp_f32_e32 v6, v6                                       // 00000000AA64: 7E0C4506
	v_rcp_f32_e32 v7, v7                                       // 00000000AA68: 7E0E4507
	v_mul_f32_e32 v148, v148, v4                               // 00000000AA6C: 0B280994
	v_mul_f32_e32 v149, v149, v5                               // 00000000AA70: 0B2A0B95
	v_mul_f32_e32 v150, v150, v6                               // 00000000AA74: 0B2C0D96
	v_mul_f32_e32 v151, v151, v7                               // 00000000AA78: 0B2E0F97
	v_mul_f32_e32 v148, v148, v244                             // 00000000AA7C: 0B29E994
	v_mul_f32_e32 v149, v149, v245                             // 00000000AA80: 0B2BEB95
	v_mul_f32_e32 v150, v150, v246                             // 00000000AA84: 0B2DED96
	v_mul_f32_e32 v151, v151, v247                             // 00000000AA88: 0B2FEF97

000000000000aa8c <label_2023>:
	s_cmp_eq_u32 s7, 0                                         // 00000000AA8C: BF068007
	s_cbranch_scc0 label_2030                                  // 00000000AA90: BF84000B
	v_and_b32_e32 v4, 15, v0                                   // 00000000AA94: 2608008F
	v_lshlrev_b32_e32 v4, 2, v4                                // 00000000AA98: 24080882
	buffer_load_dword v30, v4, s[12:15], 0 offen               // 00000000AA9C: E0501000 80031E04
	v_add_u32_e32 v4, 64, v4                                   // 00000000AAA4: 680808C0
	buffer_load_dword v31, v4, s[12:15], 0 offen               // 00000000AAA8: E0501000 80031F04
	v_add_u32_e32 v4, 64, v4                                   // 00000000AAB0: 680808C0
	buffer_load_dword v32, v4, s[12:15], 0 offen               // 00000000AAB4: E0501000 80032004
	v_add_u32_e32 v4, 64, v4                                   // 00000000AABC: 680808C0

000000000000aac0 <label_2030>:
	v_lshlrev_b32_e32 v4, 2, v0                                // 00000000AAC0: 24080082
	s_mul_i32 s60, 0x100, s7                                   // 00000000AAC4: 923C07FF 00000100
	v_add_u32_e32 v164, s60, v4                                // 00000000AACC: 6948083C
	v_and_b32_e32 v4, 15, v0                                   // 00000000AAD0: 2608008F
	v_lshlrev_b32_e32 v165, 2, v4                              // 00000000AAD4: 254A0882
	s_waitcnt lgkmcnt(0)                                       // 00000000AAD8: BF8CC07F
	s_barrier                                                  // 00000000AADC: BF8A0000
	v_mov_b32_e32 v152, 0x358637bd                             // 00000000AAE0: 7F3002FF 358637BD
	v_max3_f32 v152, |v56|, |v57|, v152                        // 00000000AAE8: D1D30398 06627338
	v_max3_f32 v152, |v58|, |v59|, v152                        // 00000000AAF0: D1D30398 0662773A
	v_max3_f32 v152, |v68|, |v69|, v152                        // 00000000AAF8: D1D30398 06628B44
	v_max3_f32 v152, |v70|, |v71|, v152                        // 00000000AB00: D1D30398 06628F46
	ds_write_b32 v164, v152                                    // 00000000AB08: D81A0000 000098A4
	s_waitcnt lgkmcnt(0)                                       // 00000000AB10: BF8CC07F
	s_barrier                                                  // 00000000AB14: BF8A0000
	ds_read_b32 v4, v165                                       // 00000000AB18: D86C0000 040000A5
	ds_read_b32 v5, v165 offset:64                             // 00000000AB20: D86C0040 050000A5
	ds_read_b32 v6, v165 offset:128                            // 00000000AB28: D86C0080 060000A5
	ds_read_b32 v7, v165 offset:192                            // 00000000AB30: D86C00C0 070000A5
	ds_read_b32 v8, v165 offset:256                            // 00000000AB38: D86C0100 080000A5
	ds_read_b32 v9, v165 offset:320                            // 00000000AB40: D86C0140 090000A5
	ds_read_b32 v10, v165 offset:384                           // 00000000AB48: D86C0180 0A0000A5
	ds_read_b32 v11, v165 offset:448                           // 00000000AB50: D86C01C0 0B0000A5
	ds_read_b32 v12, v165 offset:512                           // 00000000AB58: D86C0200 0C0000A5
	ds_read_b32 v13, v165 offset:576                           // 00000000AB60: D86C0240 0D0000A5
	ds_read_b32 v14, v165 offset:640                           // 00000000AB68: D86C0280 0E0000A5
	ds_read_b32 v15, v165 offset:704                           // 00000000AB70: D86C02C0 0F0000A5
	ds_read_b32 v16, v165 offset:768                           // 00000000AB78: D86C0300 100000A5
	ds_read_b32 v17, v165 offset:832                           // 00000000AB80: D86C0340 110000A5
	ds_read_b32 v18, v165 offset:896                           // 00000000AB88: D86C0380 120000A5
	ds_read_b32 v19, v165 offset:960                           // 00000000AB90: D86C03C0 130000A5
	s_waitcnt lgkmcnt(0)                                       // 00000000AB98: BF8CC07F
	s_barrier                                                  // 00000000AB9C: BF8A0000
	v_max3_f32 v152, |v4|, |v5|, v152                          // 00000000ABA0: D1D30398 06620B04
	v_max3_f32 v152, |v6|, |v7|, v152                          // 00000000ABA8: D1D30398 06620F06
	v_max3_f32 v152, |v8|, |v9|, v152                          // 00000000ABB0: D1D30398 06621308
	v_max3_f32 v152, |v10|, |v11|, v152                        // 00000000ABB8: D1D30398 0662170A
	v_max3_f32 v152, |v12|, |v13|, v152                        // 00000000ABC0: D1D30398 06621B0C
	v_max3_f32 v152, |v14|, |v15|, v152                        // 00000000ABC8: D1D30398 06621F0E
	v_max3_f32 v152, |v16|, |v17|, v152                        // 00000000ABD0: D1D30398 06622310
	v_max3_f32 v152, |v18|, |v19|, v152                        // 00000000ABD8: D1D30398 06622712
	v_rcp_f32_e32 v152, v152                                   // 00000000ABE0: 7F304598
	v_mov_b32_e32 v4, 0x43700000                               // 00000000ABE4: 7E0802FF 43700000
	v_mul_f32_e32 v152, v4, v152                               // 00000000ABEC: 0B313104
	v_mov_b32_e32 v4, v152                                     // 00000000ABF0: 7E080398
	v_mov_b32_e32 v5, v4                                       // 00000000ABF4: 7E0A0304
	v_pk_mul_f32 v[56:57], v[4:5], v[56:57]                    // 00000000ABF8: D3B14038 18027104
	v_pk_mul_f32 v[58:59], v[4:5], v[58:59]                    // 00000000AC00: D3B1403A 18027504
	v_cvt_pk_fp8_f32 v56, v56, v57                             // 00000000AC08: D2A20038 00027338
	v_cvt_pk_fp8_f32 v56, v58, v59 op_sel:[0,0,1]              // 00000000AC10: D2A24038 0002773A
	v_pk_mul_f32 v[68:69], v[4:5], v[68:69]                    // 00000000AC18: D3B14044 18028904
	v_pk_mul_f32 v[70:71], v[4:5], v[70:71]                    // 00000000AC20: D3B14046 18028D04
	v_cvt_pk_fp8_f32 v68, v68, v69                             // 00000000AC28: D2A20044 00028B44
	v_cvt_pk_fp8_f32 v68, v70, v71 op_sel:[0,0,1]              // 00000000AC30: D2A24044 00028F46
	v_rcp_f32_e32 v152, v152                                   // 00000000AC38: 7F304598
	v_mov_b32_e32 v155, 0x358637bd                             // 00000000AC3C: 7F3602FF 358637BD
	v_max3_f32 v155, |v80|, |v81|, v155                        // 00000000AC44: D1D3039B 066EA350
	v_max3_f32 v155, |v82|, |v83|, v155                        // 00000000AC4C: D1D3039B 066EA752
	v_max3_f32 v155, |v92|, |v93|, v155                        // 00000000AC54: D1D3039B 066EBB5C
	v_max3_f32 v155, |v94|, |v95|, v155                        // 00000000AC5C: D1D3039B 066EBF5E
	ds_write_b32 v164, v155                                    // 00000000AC64: D81A0000 00009BA4
	s_waitcnt lgkmcnt(0)                                       // 00000000AC6C: BF8CC07F
	s_barrier                                                  // 00000000AC70: BF8A0000
	ds_read_b32 v4, v165                                       // 00000000AC74: D86C0000 040000A5
	ds_read_b32 v5, v165 offset:64                             // 00000000AC7C: D86C0040 050000A5
	ds_read_b32 v6, v165 offset:128                            // 00000000AC84: D86C0080 060000A5
	ds_read_b32 v7, v165 offset:192                            // 00000000AC8C: D86C00C0 070000A5
	ds_read_b32 v8, v165 offset:256                            // 00000000AC94: D86C0100 080000A5
	ds_read_b32 v9, v165 offset:320                            // 00000000AC9C: D86C0140 090000A5
	ds_read_b32 v10, v165 offset:384                           // 00000000ACA4: D86C0180 0A0000A5
	ds_read_b32 v11, v165 offset:448                           // 00000000ACAC: D86C01C0 0B0000A5
	ds_read_b32 v12, v165 offset:512                           // 00000000ACB4: D86C0200 0C0000A5
	ds_read_b32 v13, v165 offset:576                           // 00000000ACBC: D86C0240 0D0000A5
	ds_read_b32 v14, v165 offset:640                           // 00000000ACC4: D86C0280 0E0000A5
	ds_read_b32 v15, v165 offset:704                           // 00000000ACCC: D86C02C0 0F0000A5
	ds_read_b32 v16, v165 offset:768                           // 00000000ACD4: D86C0300 100000A5
	ds_read_b32 v17, v165 offset:832                           // 00000000ACDC: D86C0340 110000A5
	ds_read_b32 v18, v165 offset:896                           // 00000000ACE4: D86C0380 120000A5
	ds_read_b32 v19, v165 offset:960                           // 00000000ACEC: D86C03C0 130000A5
	s_waitcnt lgkmcnt(0)                                       // 00000000ACF4: BF8CC07F
	s_barrier                                                  // 00000000ACF8: BF8A0000
	v_max3_f32 v155, |v4|, |v5|, v155                          // 00000000ACFC: D1D3039B 066E0B04
	v_max3_f32 v155, |v6|, |v7|, v155                          // 00000000AD04: D1D3039B 066E0F06
	v_max3_f32 v155, |v8|, |v9|, v155                          // 00000000AD0C: D1D3039B 066E1308
	v_max3_f32 v155, |v10|, |v11|, v155                        // 00000000AD14: D1D3039B 066E170A
	v_max3_f32 v155, |v12|, |v13|, v155                        // 00000000AD1C: D1D3039B 066E1B0C
	v_max3_f32 v155, |v14|, |v15|, v155                        // 00000000AD24: D1D3039B 066E1F0E
	v_max3_f32 v155, |v16|, |v17|, v155                        // 00000000AD2C: D1D3039B 066E2310
	v_max3_f32 v155, |v18|, |v19|, v155                        // 00000000AD34: D1D3039B 066E2712
	v_rcp_f32_e32 v155, v155                                   // 00000000AD3C: 7F36459B
	v_mov_b32_e32 v4, 0x43700000                               // 00000000AD40: 7E0802FF 43700000
	v_mul_f32_e32 v155, v4, v155                               // 00000000AD48: 0B373704
	v_mov_b32_e32 v4, v155                                     // 00000000AD4C: 7E08039B
	v_mov_b32_e32 v5, v4                                       // 00000000AD50: 7E0A0304
	v_pk_mul_f32 v[80:81], v[4:5], v[80:81]                    // 00000000AD54: D3B14050 1802A104
	v_pk_mul_f32 v[82:83], v[4:5], v[82:83]                    // 00000000AD5C: D3B14052 1802A504
	v_cvt_pk_fp8_f32 v80, v80, v81                             // 00000000AD64: D2A20050 0002A350
	v_cvt_pk_fp8_f32 v80, v82, v83 op_sel:[0,0,1]              // 00000000AD6C: D2A24050 0002A752
	v_pk_mul_f32 v[92:93], v[4:5], v[92:93]                    // 00000000AD74: D3B1405C 1802B904
	v_pk_mul_f32 v[94:95], v[4:5], v[94:95]                    // 00000000AD7C: D3B1405E 1802BD04
	v_cvt_pk_fp8_f32 v92, v92, v93                             // 00000000AD84: D2A2005C 0002BB5C
	v_cvt_pk_fp8_f32 v92, v94, v95 op_sel:[0,0,1]              // 00000000AD8C: D2A2405C 0002BF5E
	v_rcp_f32_e32 v155, v155                                   // 00000000AD94: 7F36459B
	v_mov_b32_e32 v158, 0x358637bd                             // 00000000AD98: 7F3C02FF 358637BD
	v_max3_f32 v158, |v104|, |v105|, v158                      // 00000000ADA0: D1D3039E 067AD368
	v_max3_f32 v158, |v106|, |v107|, v158                      // 00000000ADA8: D1D3039E 067AD76A
	v_max3_f32 v158, |v116|, |v117|, v158                      // 00000000ADB0: D1D3039E 067AEB74
	v_max3_f32 v158, |v118|, |v119|, v158                      // 00000000ADB8: D1D3039E 067AEF76
	ds_write_b32 v164, v158                                    // 00000000ADC0: D81A0000 00009EA4
	s_waitcnt lgkmcnt(0)                                       // 00000000ADC8: BF8CC07F
	s_barrier                                                  // 00000000ADCC: BF8A0000
	ds_read_b32 v4, v165                                       // 00000000ADD0: D86C0000 040000A5
	ds_read_b32 v5, v165 offset:64                             // 00000000ADD8: D86C0040 050000A5
	ds_read_b32 v6, v165 offset:128                            // 00000000ADE0: D86C0080 060000A5
	ds_read_b32 v7, v165 offset:192                            // 00000000ADE8: D86C00C0 070000A5
	ds_read_b32 v8, v165 offset:256                            // 00000000ADF0: D86C0100 080000A5
	ds_read_b32 v9, v165 offset:320                            // 00000000ADF8: D86C0140 090000A5
	ds_read_b32 v10, v165 offset:384                           // 00000000AE00: D86C0180 0A0000A5
	ds_read_b32 v11, v165 offset:448                           // 00000000AE08: D86C01C0 0B0000A5
	ds_read_b32 v12, v165 offset:512                           // 00000000AE10: D86C0200 0C0000A5
	ds_read_b32 v13, v165 offset:576                           // 00000000AE18: D86C0240 0D0000A5
	ds_read_b32 v14, v165 offset:640                           // 00000000AE20: D86C0280 0E0000A5
	ds_read_b32 v15, v165 offset:704                           // 00000000AE28: D86C02C0 0F0000A5
	ds_read_b32 v16, v165 offset:768                           // 00000000AE30: D86C0300 100000A5
	ds_read_b32 v17, v165 offset:832                           // 00000000AE38: D86C0340 110000A5
	ds_read_b32 v18, v165 offset:896                           // 00000000AE40: D86C0380 120000A5
	ds_read_b32 v19, v165 offset:960                           // 00000000AE48: D86C03C0 130000A5
	s_waitcnt lgkmcnt(0)                                       // 00000000AE50: BF8CC07F
	s_barrier                                                  // 00000000AE54: BF8A0000
	v_max3_f32 v158, |v4|, |v5|, v158                          // 00000000AE58: D1D3039E 067A0B04
	v_max3_f32 v158, |v6|, |v7|, v158                          // 00000000AE60: D1D3039E 067A0F06
	v_max3_f32 v158, |v8|, |v9|, v158                          // 00000000AE68: D1D3039E 067A1308
	v_max3_f32 v158, |v10|, |v11|, v158                        // 00000000AE70: D1D3039E 067A170A
	v_max3_f32 v158, |v12|, |v13|, v158                        // 00000000AE78: D1D3039E 067A1B0C
	v_max3_f32 v158, |v14|, |v15|, v158                        // 00000000AE80: D1D3039E 067A1F0E
	v_max3_f32 v158, |v16|, |v17|, v158                        // 00000000AE88: D1D3039E 067A2310
	v_max3_f32 v158, |v18|, |v19|, v158                        // 00000000AE90: D1D3039E 067A2712
	v_rcp_f32_e32 v158, v158                                   // 00000000AE98: 7F3C459E
	v_mov_b32_e32 v4, 0x43700000                               // 00000000AE9C: 7E0802FF 43700000
	v_mul_f32_e32 v158, v4, v158                               // 00000000AEA4: 0B3D3D04
	v_mov_b32_e32 v4, v158                                     // 00000000AEA8: 7E08039E
	v_mov_b32_e32 v5, v4                                       // 00000000AEAC: 7E0A0304
	v_pk_mul_f32 v[104:105], v[4:5], v[104:105]                // 00000000AEB0: D3B14068 1802D104
	v_pk_mul_f32 v[106:107], v[4:5], v[106:107]                // 00000000AEB8: D3B1406A 1802D504
	v_cvt_pk_fp8_f32 v104, v104, v105                          // 00000000AEC0: D2A20068 0002D368
	v_cvt_pk_fp8_f32 v104, v106, v107 op_sel:[0,0,1]           // 00000000AEC8: D2A24068 0002D76A
	v_pk_mul_f32 v[116:117], v[4:5], v[116:117]                // 00000000AED0: D3B14074 1802E904
	v_pk_mul_f32 v[118:119], v[4:5], v[118:119]                // 00000000AED8: D3B14076 1802ED04
	v_cvt_pk_fp8_f32 v116, v116, v117                          // 00000000AEE0: D2A20074 0002EB74
	v_cvt_pk_fp8_f32 v116, v118, v119 op_sel:[0,0,1]           // 00000000AEE8: D2A24074 0002EF76
	v_rcp_f32_e32 v158, v158                                   // 00000000AEF0: 7F3C459E
	v_mov_b32_e32 v161, 0x358637bd                             // 00000000AEF4: 7F4202FF 358637BD
	v_max3_f32 v161, |v128|, |v129|, v161                      // 00000000AEFC: D1D303A1 06870380
	v_max3_f32 v161, |v130|, |v131|, v161                      // 00000000AF04: D1D303A1 06870782
	v_max3_f32 v161, |v140|, |v141|, v161                      // 00000000AF0C: D1D303A1 06871B8C
	v_max3_f32 v161, |v142|, |v143|, v161                      // 00000000AF14: D1D303A1 06871F8E
	ds_write_b32 v164, v161                                    // 00000000AF1C: D81A0000 0000A1A4
	s_waitcnt lgkmcnt(0)                                       // 00000000AF24: BF8CC07F
	s_barrier                                                  // 00000000AF28: BF8A0000
	ds_read_b32 v4, v165                                       // 00000000AF2C: D86C0000 040000A5
	ds_read_b32 v5, v165 offset:64                             // 00000000AF34: D86C0040 050000A5
	ds_read_b32 v6, v165 offset:128                            // 00000000AF3C: D86C0080 060000A5
	ds_read_b32 v7, v165 offset:192                            // 00000000AF44: D86C00C0 070000A5
	ds_read_b32 v8, v165 offset:256                            // 00000000AF4C: D86C0100 080000A5
	ds_read_b32 v9, v165 offset:320                            // 00000000AF54: D86C0140 090000A5
	ds_read_b32 v10, v165 offset:384                           // 00000000AF5C: D86C0180 0A0000A5
	ds_read_b32 v11, v165 offset:448                           // 00000000AF64: D86C01C0 0B0000A5
	ds_read_b32 v12, v165 offset:512                           // 00000000AF6C: D86C0200 0C0000A5
	ds_read_b32 v13, v165 offset:576                           // 00000000AF74: D86C0240 0D0000A5
	ds_read_b32 v14, v165 offset:640                           // 00000000AF7C: D86C0280 0E0000A5
	ds_read_b32 v15, v165 offset:704                           // 00000000AF84: D86C02C0 0F0000A5
	ds_read_b32 v16, v165 offset:768                           // 00000000AF8C: D86C0300 100000A5
	ds_read_b32 v17, v165 offset:832                           // 00000000AF94: D86C0340 110000A5
	ds_read_b32 v18, v165 offset:896                           // 00000000AF9C: D86C0380 120000A5
	ds_read_b32 v19, v165 offset:960                           // 00000000AFA4: D86C03C0 130000A5
	s_waitcnt lgkmcnt(0)                                       // 00000000AFAC: BF8CC07F
	s_barrier                                                  // 00000000AFB0: BF8A0000
	v_max3_f32 v161, |v4|, |v5|, v161                          // 00000000AFB4: D1D303A1 06860B04
	v_max3_f32 v161, |v6|, |v7|, v161                          // 00000000AFBC: D1D303A1 06860F06
	v_max3_f32 v161, |v8|, |v9|, v161                          // 00000000AFC4: D1D303A1 06861308
	v_max3_f32 v161, |v10|, |v11|, v161                        // 00000000AFCC: D1D303A1 0686170A
	v_max3_f32 v161, |v12|, |v13|, v161                        // 00000000AFD4: D1D303A1 06861B0C
	v_max3_f32 v161, |v14|, |v15|, v161                        // 00000000AFDC: D1D303A1 06861F0E
	v_max3_f32 v161, |v16|, |v17|, v161                        // 00000000AFE4: D1D303A1 06862310
	v_max3_f32 v161, |v18|, |v19|, v161                        // 00000000AFEC: D1D303A1 06862712
	v_rcp_f32_e32 v161, v161                                   // 00000000AFF4: 7F4245A1
	v_mov_b32_e32 v4, 0x43700000                               // 00000000AFF8: 7E0802FF 43700000
	v_mul_f32_e32 v161, v4, v161                               // 00000000B000: 0B434304
	v_mov_b32_e32 v4, v161                                     // 00000000B004: 7E0803A1
	v_mov_b32_e32 v5, v4                                       // 00000000B008: 7E0A0304
	v_pk_mul_f32 v[128:129], v[4:5], v[128:129]                // 00000000B00C: D3B14080 18030104
	v_pk_mul_f32 v[130:131], v[4:5], v[130:131]                // 00000000B014: D3B14082 18030504
	v_cvt_pk_fp8_f32 v128, v128, v129                          // 00000000B01C: D2A20080 00030380
	v_cvt_pk_fp8_f32 v128, v130, v131 op_sel:[0,0,1]           // 00000000B024: D2A24080 00030782
	v_pk_mul_f32 v[140:141], v[4:5], v[140:141]                // 00000000B02C: D3B1408C 18031904
	v_pk_mul_f32 v[142:143], v[4:5], v[142:143]                // 00000000B034: D3B1408E 18031D04
	v_cvt_pk_fp8_f32 v140, v140, v141                          // 00000000B03C: D2A2008C 00031B8C
	v_cvt_pk_fp8_f32 v140, v142, v143 op_sel:[0,0,1]           // 00000000B044: D2A2408C 00031F8E
	v_rcp_f32_e32 v161, v161                                   // 00000000B04C: 7F4245A1
	v_mov_b32_e32 v153, 0x358637bd                             // 00000000B050: 7F3202FF 358637BD
	v_max3_f32 v153, |v60|, |v61|, v153                        // 00000000B058: D1D30399 06667B3C
	v_max3_f32 v153, |v62|, |v63|, v153                        // 00000000B060: D1D30399 06667F3E
	v_max3_f32 v153, |v72|, |v73|, v153                        // 00000000B068: D1D30399 06669348
	v_max3_f32 v153, |v74|, |v75|, v153                        // 00000000B070: D1D30399 0666974A
	ds_write_b32 v164, v153                                    // 00000000B078: D81A0000 000099A4
	s_waitcnt lgkmcnt(0)                                       // 00000000B080: BF8CC07F
	s_barrier                                                  // 00000000B084: BF8A0000
	ds_read_b32 v4, v165                                       // 00000000B088: D86C0000 040000A5
	ds_read_b32 v5, v165 offset:64                             // 00000000B090: D86C0040 050000A5
	ds_read_b32 v6, v165 offset:128                            // 00000000B098: D86C0080 060000A5
	ds_read_b32 v7, v165 offset:192                            // 00000000B0A0: D86C00C0 070000A5
	ds_read_b32 v8, v165 offset:256                            // 00000000B0A8: D86C0100 080000A5
	ds_read_b32 v9, v165 offset:320                            // 00000000B0B0: D86C0140 090000A5
	ds_read_b32 v10, v165 offset:384                           // 00000000B0B8: D86C0180 0A0000A5
	ds_read_b32 v11, v165 offset:448                           // 00000000B0C0: D86C01C0 0B0000A5
	ds_read_b32 v12, v165 offset:512                           // 00000000B0C8: D86C0200 0C0000A5
	ds_read_b32 v13, v165 offset:576                           // 00000000B0D0: D86C0240 0D0000A5
	ds_read_b32 v14, v165 offset:640                           // 00000000B0D8: D86C0280 0E0000A5
	ds_read_b32 v15, v165 offset:704                           // 00000000B0E0: D86C02C0 0F0000A5
	ds_read_b32 v16, v165 offset:768                           // 00000000B0E8: D86C0300 100000A5
	ds_read_b32 v17, v165 offset:832                           // 00000000B0F0: D86C0340 110000A5
	ds_read_b32 v18, v165 offset:896                           // 00000000B0F8: D86C0380 120000A5
	ds_read_b32 v19, v165 offset:960                           // 00000000B100: D86C03C0 130000A5
	s_waitcnt lgkmcnt(0)                                       // 00000000B108: BF8CC07F
	s_barrier                                                  // 00000000B10C: BF8A0000
	v_max3_f32 v153, |v4|, |v5|, v153                          // 00000000B110: D1D30399 06660B04
	v_max3_f32 v153, |v6|, |v7|, v153                          // 00000000B118: D1D30399 06660F06
	v_max3_f32 v153, |v8|, |v9|, v153                          // 00000000B120: D1D30399 06661308
	v_max3_f32 v153, |v10|, |v11|, v153                        // 00000000B128: D1D30399 0666170A
	v_max3_f32 v153, |v12|, |v13|, v153                        // 00000000B130: D1D30399 06661B0C
	v_max3_f32 v153, |v14|, |v15|, v153                        // 00000000B138: D1D30399 06661F0E
	v_max3_f32 v153, |v16|, |v17|, v153                        // 00000000B140: D1D30399 06662310
	v_max3_f32 v153, |v18|, |v19|, v153                        // 00000000B148: D1D30399 06662712
	v_rcp_f32_e32 v153, v153                                   // 00000000B150: 7F324599
	v_mov_b32_e32 v4, 0x43700000                               // 00000000B154: 7E0802FF 43700000
	v_mul_f32_e32 v153, v4, v153                               // 00000000B15C: 0B333304
	v_mov_b32_e32 v4, v153                                     // 00000000B160: 7E080399
	v_mov_b32_e32 v5, v4                                       // 00000000B164: 7E0A0304
	v_pk_mul_f32 v[60:61], v[4:5], v[60:61]                    // 00000000B168: D3B1403C 18027904
	v_pk_mul_f32 v[62:63], v[4:5], v[62:63]                    // 00000000B170: D3B1403E 18027D04
	v_cvt_pk_fp8_f32 v60, v60, v61                             // 00000000B178: D2A2003C 00027B3C
	v_cvt_pk_fp8_f32 v60, v62, v63 op_sel:[0,0,1]              // 00000000B180: D2A2403C 00027F3E
	v_pk_mul_f32 v[72:73], v[4:5], v[72:73]                    // 00000000B188: D3B14048 18029104
	v_pk_mul_f32 v[74:75], v[4:5], v[74:75]                    // 00000000B190: D3B1404A 18029504
	v_cvt_pk_fp8_f32 v72, v72, v73                             // 00000000B198: D2A20048 00029348
	v_cvt_pk_fp8_f32 v72, v74, v75 op_sel:[0,0,1]              // 00000000B1A0: D2A24048 0002974A
	v_rcp_f32_e32 v153, v153                                   // 00000000B1A8: 7F324599
	v_mov_b32_e32 v156, 0x358637bd                             // 00000000B1AC: 7F3802FF 358637BD
	v_max3_f32 v156, |v84|, |v85|, v156                        // 00000000B1B4: D1D3039C 0672AB54
	v_max3_f32 v156, |v86|, |v87|, v156                        // 00000000B1BC: D1D3039C 0672AF56
	v_max3_f32 v156, |v96|, |v97|, v156                        // 00000000B1C4: D1D3039C 0672C360
	v_max3_f32 v156, |v98|, |v99|, v156                        // 00000000B1CC: D1D3039C 0672C762
	ds_write_b32 v164, v156                                    // 00000000B1D4: D81A0000 00009CA4
	s_waitcnt lgkmcnt(0)                                       // 00000000B1DC: BF8CC07F
	s_barrier                                                  // 00000000B1E0: BF8A0000
	ds_read_b32 v4, v165                                       // 00000000B1E4: D86C0000 040000A5
	ds_read_b32 v5, v165 offset:64                             // 00000000B1EC: D86C0040 050000A5
	ds_read_b32 v6, v165 offset:128                            // 00000000B1F4: D86C0080 060000A5
	ds_read_b32 v7, v165 offset:192                            // 00000000B1FC: D86C00C0 070000A5
	ds_read_b32 v8, v165 offset:256                            // 00000000B204: D86C0100 080000A5
	ds_read_b32 v9, v165 offset:320                            // 00000000B20C: D86C0140 090000A5
	ds_read_b32 v10, v165 offset:384                           // 00000000B214: D86C0180 0A0000A5
	ds_read_b32 v11, v165 offset:448                           // 00000000B21C: D86C01C0 0B0000A5
	ds_read_b32 v12, v165 offset:512                           // 00000000B224: D86C0200 0C0000A5
	ds_read_b32 v13, v165 offset:576                           // 00000000B22C: D86C0240 0D0000A5
	ds_read_b32 v14, v165 offset:640                           // 00000000B234: D86C0280 0E0000A5
	ds_read_b32 v15, v165 offset:704                           // 00000000B23C: D86C02C0 0F0000A5
	ds_read_b32 v16, v165 offset:768                           // 00000000B244: D86C0300 100000A5
	ds_read_b32 v17, v165 offset:832                           // 00000000B24C: D86C0340 110000A5
	ds_read_b32 v18, v165 offset:896                           // 00000000B254: D86C0380 120000A5
	ds_read_b32 v19, v165 offset:960                           // 00000000B25C: D86C03C0 130000A5
	s_waitcnt lgkmcnt(0)                                       // 00000000B264: BF8CC07F
	s_barrier                                                  // 00000000B268: BF8A0000
	v_max3_f32 v156, |v4|, |v5|, v156                          // 00000000B26C: D1D3039C 06720B04
	v_max3_f32 v156, |v6|, |v7|, v156                          // 00000000B274: D1D3039C 06720F06
	v_max3_f32 v156, |v8|, |v9|, v156                          // 00000000B27C: D1D3039C 06721308
	v_max3_f32 v156, |v10|, |v11|, v156                        // 00000000B284: D1D3039C 0672170A
	v_max3_f32 v156, |v12|, |v13|, v156                        // 00000000B28C: D1D3039C 06721B0C
	v_max3_f32 v156, |v14|, |v15|, v156                        // 00000000B294: D1D3039C 06721F0E
	v_max3_f32 v156, |v16|, |v17|, v156                        // 00000000B29C: D1D3039C 06722310
	v_max3_f32 v156, |v18|, |v19|, v156                        // 00000000B2A4: D1D3039C 06722712
	v_rcp_f32_e32 v156, v156                                   // 00000000B2AC: 7F38459C
	v_mov_b32_e32 v4, 0x43700000                               // 00000000B2B0: 7E0802FF 43700000
	v_mul_f32_e32 v156, v4, v156                               // 00000000B2B8: 0B393904
	v_mov_b32_e32 v4, v156                                     // 00000000B2BC: 7E08039C
	v_mov_b32_e32 v5, v4                                       // 00000000B2C0: 7E0A0304
	v_pk_mul_f32 v[84:85], v[4:5], v[84:85]                    // 00000000B2C4: D3B14054 1802A904
	v_pk_mul_f32 v[86:87], v[4:5], v[86:87]                    // 00000000B2CC: D3B14056 1802AD04
	v_cvt_pk_fp8_f32 v84, v84, v85                             // 00000000B2D4: D2A20054 0002AB54
	v_cvt_pk_fp8_f32 v84, v86, v87 op_sel:[0,0,1]              // 00000000B2DC: D2A24054 0002AF56
	v_pk_mul_f32 v[96:97], v[4:5], v[96:97]                    // 00000000B2E4: D3B14060 1802C104
	v_pk_mul_f32 v[98:99], v[4:5], v[98:99]                    // 00000000B2EC: D3B14062 1802C504
	v_cvt_pk_fp8_f32 v96, v96, v97                             // 00000000B2F4: D2A20060 0002C360
	v_cvt_pk_fp8_f32 v96, v98, v99 op_sel:[0,0,1]              // 00000000B2FC: D2A24060 0002C762
	v_rcp_f32_e32 v156, v156                                   // 00000000B304: 7F38459C
	v_mov_b32_e32 v159, 0x358637bd                             // 00000000B308: 7F3E02FF 358637BD
	v_max3_f32 v159, |v108|, |v109|, v159                      // 00000000B310: D1D3039F 067EDB6C
	v_max3_f32 v159, |v110|, |v111|, v159                      // 00000000B318: D1D3039F 067EDF6E
	v_max3_f32 v159, |v120|, |v121|, v159                      // 00000000B320: D1D3039F 067EF378
	v_max3_f32 v159, |v122|, |v123|, v159                      // 00000000B328: D1D3039F 067EF77A
	ds_write_b32 v164, v159                                    // 00000000B330: D81A0000 00009FA4
	s_waitcnt lgkmcnt(0)                                       // 00000000B338: BF8CC07F
	s_barrier                                                  // 00000000B33C: BF8A0000
	ds_read_b32 v4, v165                                       // 00000000B340: D86C0000 040000A5
	ds_read_b32 v5, v165 offset:64                             // 00000000B348: D86C0040 050000A5
	ds_read_b32 v6, v165 offset:128                            // 00000000B350: D86C0080 060000A5
	ds_read_b32 v7, v165 offset:192                            // 00000000B358: D86C00C0 070000A5
	ds_read_b32 v8, v165 offset:256                            // 00000000B360: D86C0100 080000A5
	ds_read_b32 v9, v165 offset:320                            // 00000000B368: D86C0140 090000A5
	ds_read_b32 v10, v165 offset:384                           // 00000000B370: D86C0180 0A0000A5
	ds_read_b32 v11, v165 offset:448                           // 00000000B378: D86C01C0 0B0000A5
	ds_read_b32 v12, v165 offset:512                           // 00000000B380: D86C0200 0C0000A5
	ds_read_b32 v13, v165 offset:576                           // 00000000B388: D86C0240 0D0000A5
	ds_read_b32 v14, v165 offset:640                           // 00000000B390: D86C0280 0E0000A5
	ds_read_b32 v15, v165 offset:704                           // 00000000B398: D86C02C0 0F0000A5
	ds_read_b32 v16, v165 offset:768                           // 00000000B3A0: D86C0300 100000A5
	ds_read_b32 v17, v165 offset:832                           // 00000000B3A8: D86C0340 110000A5
	ds_read_b32 v18, v165 offset:896                           // 00000000B3B0: D86C0380 120000A5
	ds_read_b32 v19, v165 offset:960                           // 00000000B3B8: D86C03C0 130000A5
	s_waitcnt lgkmcnt(0)                                       // 00000000B3C0: BF8CC07F
	s_barrier                                                  // 00000000B3C4: BF8A0000
	v_max3_f32 v159, |v4|, |v5|, v159                          // 00000000B3C8: D1D3039F 067E0B04
	v_max3_f32 v159, |v6|, |v7|, v159                          // 00000000B3D0: D1D3039F 067E0F06
	v_max3_f32 v159, |v8|, |v9|, v159                          // 00000000B3D8: D1D3039F 067E1308
	v_max3_f32 v159, |v10|, |v11|, v159                        // 00000000B3E0: D1D3039F 067E170A
	v_max3_f32 v159, |v12|, |v13|, v159                        // 00000000B3E8: D1D3039F 067E1B0C
	v_max3_f32 v159, |v14|, |v15|, v159                        // 00000000B3F0: D1D3039F 067E1F0E
	v_max3_f32 v159, |v16|, |v17|, v159                        // 00000000B3F8: D1D3039F 067E2310
	v_max3_f32 v159, |v18|, |v19|, v159                        // 00000000B400: D1D3039F 067E2712
	v_rcp_f32_e32 v159, v159                                   // 00000000B408: 7F3E459F
	v_mov_b32_e32 v4, 0x43700000                               // 00000000B40C: 7E0802FF 43700000
	v_mul_f32_e32 v159, v4, v159                               // 00000000B414: 0B3F3F04
	v_mov_b32_e32 v4, v159                                     // 00000000B418: 7E08039F
	v_mov_b32_e32 v5, v4                                       // 00000000B41C: 7E0A0304
	v_pk_mul_f32 v[108:109], v[4:5], v[108:109]                // 00000000B420: D3B1406C 1802D904
	v_pk_mul_f32 v[110:111], v[4:5], v[110:111]                // 00000000B428: D3B1406E 1802DD04
	v_cvt_pk_fp8_f32 v108, v108, v109                          // 00000000B430: D2A2006C 0002DB6C
	v_cvt_pk_fp8_f32 v108, v110, v111 op_sel:[0,0,1]           // 00000000B438: D2A2406C 0002DF6E
	v_pk_mul_f32 v[120:121], v[4:5], v[120:121]                // 00000000B440: D3B14078 1802F104
	v_pk_mul_f32 v[122:123], v[4:5], v[122:123]                // 00000000B448: D3B1407A 1802F504
	v_cvt_pk_fp8_f32 v120, v120, v121                          // 00000000B450: D2A20078 0002F378
	v_cvt_pk_fp8_f32 v120, v122, v123 op_sel:[0,0,1]           // 00000000B458: D2A24078 0002F77A
	v_rcp_f32_e32 v159, v159                                   // 00000000B460: 7F3E459F
	v_mov_b32_e32 v162, 0x358637bd                             // 00000000B464: 7F4402FF 358637BD
	v_max3_f32 v162, |v132|, |v133|, v162                      // 00000000B46C: D1D303A2 068B0B84
	v_max3_f32 v162, |v134|, |v135|, v162                      // 00000000B474: D1D303A2 068B0F86
	v_max3_f32 v162, |v144|, |v145|, v162                      // 00000000B47C: D1D303A2 068B2390
	v_max3_f32 v162, |v146|, |v147|, v162                      // 00000000B484: D1D303A2 068B2792
	ds_write_b32 v164, v162                                    // 00000000B48C: D81A0000 0000A2A4
	s_waitcnt lgkmcnt(0)                                       // 00000000B494: BF8CC07F
	s_barrier                                                  // 00000000B498: BF8A0000
	ds_read_b32 v4, v165                                       // 00000000B49C: D86C0000 040000A5
	ds_read_b32 v5, v165 offset:64                             // 00000000B4A4: D86C0040 050000A5
	ds_read_b32 v6, v165 offset:128                            // 00000000B4AC: D86C0080 060000A5
	ds_read_b32 v7, v165 offset:192                            // 00000000B4B4: D86C00C0 070000A5
	ds_read_b32 v8, v165 offset:256                            // 00000000B4BC: D86C0100 080000A5
	ds_read_b32 v9, v165 offset:320                            // 00000000B4C4: D86C0140 090000A5
	ds_read_b32 v10, v165 offset:384                           // 00000000B4CC: D86C0180 0A0000A5
	ds_read_b32 v11, v165 offset:448                           // 00000000B4D4: D86C01C0 0B0000A5
	ds_read_b32 v12, v165 offset:512                           // 00000000B4DC: D86C0200 0C0000A5
	ds_read_b32 v13, v165 offset:576                           // 00000000B4E4: D86C0240 0D0000A5
	ds_read_b32 v14, v165 offset:640                           // 00000000B4EC: D86C0280 0E0000A5
	ds_read_b32 v15, v165 offset:704                           // 00000000B4F4: D86C02C0 0F0000A5
	ds_read_b32 v16, v165 offset:768                           // 00000000B4FC: D86C0300 100000A5
	ds_read_b32 v17, v165 offset:832                           // 00000000B504: D86C0340 110000A5
	ds_read_b32 v18, v165 offset:896                           // 00000000B50C: D86C0380 120000A5
	ds_read_b32 v19, v165 offset:960                           // 00000000B514: D86C03C0 130000A5
	s_waitcnt lgkmcnt(0)                                       // 00000000B51C: BF8CC07F
	s_barrier                                                  // 00000000B520: BF8A0000
	v_max3_f32 v162, |v4|, |v5|, v162                          // 00000000B524: D1D303A2 068A0B04
	v_max3_f32 v162, |v6|, |v7|, v162                          // 00000000B52C: D1D303A2 068A0F06
	v_max3_f32 v162, |v8|, |v9|, v162                          // 00000000B534: D1D303A2 068A1308
	v_max3_f32 v162, |v10|, |v11|, v162                        // 00000000B53C: D1D303A2 068A170A
	v_max3_f32 v162, |v12|, |v13|, v162                        // 00000000B544: D1D303A2 068A1B0C
	v_max3_f32 v162, |v14|, |v15|, v162                        // 00000000B54C: D1D303A2 068A1F0E
	v_max3_f32 v162, |v16|, |v17|, v162                        // 00000000B554: D1D303A2 068A2310
	v_max3_f32 v162, |v18|, |v19|, v162                        // 00000000B55C: D1D303A2 068A2712
	v_rcp_f32_e32 v162, v162                                   // 00000000B564: 7F4445A2
	v_mov_b32_e32 v4, 0x43700000                               // 00000000B568: 7E0802FF 43700000
	v_mul_f32_e32 v162, v4, v162                               // 00000000B570: 0B454504
	v_mov_b32_e32 v4, v162                                     // 00000000B574: 7E0803A2
	v_mov_b32_e32 v5, v4                                       // 00000000B578: 7E0A0304
	v_pk_mul_f32 v[132:133], v[4:5], v[132:133]                // 00000000B57C: D3B14084 18030904
	v_pk_mul_f32 v[134:135], v[4:5], v[134:135]                // 00000000B584: D3B14086 18030D04
	v_cvt_pk_fp8_f32 v132, v132, v133                          // 00000000B58C: D2A20084 00030B84
	v_cvt_pk_fp8_f32 v132, v134, v135 op_sel:[0,0,1]           // 00000000B594: D2A24084 00030F86
	v_pk_mul_f32 v[144:145], v[4:5], v[144:145]                // 00000000B59C: D3B14090 18032104
	v_pk_mul_f32 v[146:147], v[4:5], v[146:147]                // 00000000B5A4: D3B14092 18032504
	v_cvt_pk_fp8_f32 v144, v144, v145                          // 00000000B5AC: D2A20090 00032390
	v_cvt_pk_fp8_f32 v144, v146, v147 op_sel:[0,0,1]           // 00000000B5B4: D2A24090 00032792
	v_rcp_f32_e32 v162, v162                                   // 00000000B5BC: 7F4445A2
	v_mov_b32_e32 v154, 0x358637bd                             // 00000000B5C0: 7F3402FF 358637BD
	v_max3_f32 v154, |v64|, |v65|, v154                        // 00000000B5C8: D1D3039A 066A8340
	v_max3_f32 v154, |v66|, |v67|, v154                        // 00000000B5D0: D1D3039A 066A8742
	v_max3_f32 v154, |v76|, |v77|, v154                        // 00000000B5D8: D1D3039A 066A9B4C
	v_max3_f32 v154, |v78|, |v79|, v154                        // 00000000B5E0: D1D3039A 066A9F4E
	ds_write_b32 v164, v154                                    // 00000000B5E8: D81A0000 00009AA4
	s_waitcnt lgkmcnt(0)                                       // 00000000B5F0: BF8CC07F
	s_barrier                                                  // 00000000B5F4: BF8A0000
	ds_read_b32 v4, v165                                       // 00000000B5F8: D86C0000 040000A5
	ds_read_b32 v5, v165 offset:64                             // 00000000B600: D86C0040 050000A5
	ds_read_b32 v6, v165 offset:128                            // 00000000B608: D86C0080 060000A5
	ds_read_b32 v7, v165 offset:192                            // 00000000B610: D86C00C0 070000A5
	ds_read_b32 v8, v165 offset:256                            // 00000000B618: D86C0100 080000A5
	ds_read_b32 v9, v165 offset:320                            // 00000000B620: D86C0140 090000A5
	ds_read_b32 v10, v165 offset:384                           // 00000000B628: D86C0180 0A0000A5
	ds_read_b32 v11, v165 offset:448                           // 00000000B630: D86C01C0 0B0000A5
	ds_read_b32 v12, v165 offset:512                           // 00000000B638: D86C0200 0C0000A5
	ds_read_b32 v13, v165 offset:576                           // 00000000B640: D86C0240 0D0000A5
	ds_read_b32 v14, v165 offset:640                           // 00000000B648: D86C0280 0E0000A5
	ds_read_b32 v15, v165 offset:704                           // 00000000B650: D86C02C0 0F0000A5
	ds_read_b32 v16, v165 offset:768                           // 00000000B658: D86C0300 100000A5
	ds_read_b32 v17, v165 offset:832                           // 00000000B660: D86C0340 110000A5
	ds_read_b32 v18, v165 offset:896                           // 00000000B668: D86C0380 120000A5
	ds_read_b32 v19, v165 offset:960                           // 00000000B670: D86C03C0 130000A5
	s_waitcnt lgkmcnt(0)                                       // 00000000B678: BF8CC07F
	s_barrier                                                  // 00000000B67C: BF8A0000
	v_max3_f32 v154, |v4|, |v5|, v154                          // 00000000B680: D1D3039A 066A0B04
	v_max3_f32 v154, |v6|, |v7|, v154                          // 00000000B688: D1D3039A 066A0F06
	v_max3_f32 v154, |v8|, |v9|, v154                          // 00000000B690: D1D3039A 066A1308
	v_max3_f32 v154, |v10|, |v11|, v154                        // 00000000B698: D1D3039A 066A170A
	v_max3_f32 v154, |v12|, |v13|, v154                        // 00000000B6A0: D1D3039A 066A1B0C
	v_max3_f32 v154, |v14|, |v15|, v154                        // 00000000B6A8: D1D3039A 066A1F0E
	v_max3_f32 v154, |v16|, |v17|, v154                        // 00000000B6B0: D1D3039A 066A2310
	v_max3_f32 v154, |v18|, |v19|, v154                        // 00000000B6B8: D1D3039A 066A2712
	v_rcp_f32_e32 v154, v154                                   // 00000000B6C0: 7F34459A
	v_mov_b32_e32 v4, 0x43700000                               // 00000000B6C4: 7E0802FF 43700000
	v_mul_f32_e32 v154, v4, v154                               // 00000000B6CC: 0B353504
	v_mov_b32_e32 v4, v154                                     // 00000000B6D0: 7E08039A
	v_mov_b32_e32 v5, v4                                       // 00000000B6D4: 7E0A0304
	v_pk_mul_f32 v[64:65], v[4:5], v[64:65]                    // 00000000B6D8: D3B14040 18028104
	v_pk_mul_f32 v[66:67], v[4:5], v[66:67]                    // 00000000B6E0: D3B14042 18028504
	v_cvt_pk_fp8_f32 v64, v64, v65                             // 00000000B6E8: D2A20040 00028340
	v_cvt_pk_fp8_f32 v64, v66, v67 op_sel:[0,0,1]              // 00000000B6F0: D2A24040 00028742
	v_pk_mul_f32 v[76:77], v[4:5], v[76:77]                    // 00000000B6F8: D3B1404C 18029904
	v_pk_mul_f32 v[78:79], v[4:5], v[78:79]                    // 00000000B700: D3B1404E 18029D04
	v_cvt_pk_fp8_f32 v76, v76, v77                             // 00000000B708: D2A2004C 00029B4C
	v_cvt_pk_fp8_f32 v76, v78, v79 op_sel:[0,0,1]              // 00000000B710: D2A2404C 00029F4E
	v_rcp_f32_e32 v154, v154                                   // 00000000B718: 7F34459A
	v_mov_b32_e32 v157, 0x358637bd                             // 00000000B71C: 7F3A02FF 358637BD
	v_max3_f32 v157, |v88|, |v89|, v157                        // 00000000B724: D1D3039D 0676B358
	v_max3_f32 v157, |v90|, |v91|, v157                        // 00000000B72C: D1D3039D 0676B75A
	v_max3_f32 v157, |v100|, |v101|, v157                      // 00000000B734: D1D3039D 0676CB64
	v_max3_f32 v157, |v102|, |v103|, v157                      // 00000000B73C: D1D3039D 0676CF66
	ds_write_b32 v164, v157                                    // 00000000B744: D81A0000 00009DA4
	s_waitcnt lgkmcnt(0)                                       // 00000000B74C: BF8CC07F
	s_barrier                                                  // 00000000B750: BF8A0000
	ds_read_b32 v4, v165                                       // 00000000B754: D86C0000 040000A5
	ds_read_b32 v5, v165 offset:64                             // 00000000B75C: D86C0040 050000A5
	ds_read_b32 v6, v165 offset:128                            // 00000000B764: D86C0080 060000A5
	ds_read_b32 v7, v165 offset:192                            // 00000000B76C: D86C00C0 070000A5
	ds_read_b32 v8, v165 offset:256                            // 00000000B774: D86C0100 080000A5
	ds_read_b32 v9, v165 offset:320                            // 00000000B77C: D86C0140 090000A5
	ds_read_b32 v10, v165 offset:384                           // 00000000B784: D86C0180 0A0000A5
	ds_read_b32 v11, v165 offset:448                           // 00000000B78C: D86C01C0 0B0000A5
	ds_read_b32 v12, v165 offset:512                           // 00000000B794: D86C0200 0C0000A5
	ds_read_b32 v13, v165 offset:576                           // 00000000B79C: D86C0240 0D0000A5
	ds_read_b32 v14, v165 offset:640                           // 00000000B7A4: D86C0280 0E0000A5
	ds_read_b32 v15, v165 offset:704                           // 00000000B7AC: D86C02C0 0F0000A5
	ds_read_b32 v16, v165 offset:768                           // 00000000B7B4: D86C0300 100000A5
	ds_read_b32 v17, v165 offset:832                           // 00000000B7BC: D86C0340 110000A5
	ds_read_b32 v18, v165 offset:896                           // 00000000B7C4: D86C0380 120000A5
	ds_read_b32 v19, v165 offset:960                           // 00000000B7CC: D86C03C0 130000A5
	s_waitcnt lgkmcnt(0)                                       // 00000000B7D4: BF8CC07F
	s_barrier                                                  // 00000000B7D8: BF8A0000
	v_max3_f32 v157, |v4|, |v5|, v157                          // 00000000B7DC: D1D3039D 06760B04
	v_max3_f32 v157, |v6|, |v7|, v157                          // 00000000B7E4: D1D3039D 06760F06
	v_max3_f32 v157, |v8|, |v9|, v157                          // 00000000B7EC: D1D3039D 06761308
	v_max3_f32 v157, |v10|, |v11|, v157                        // 00000000B7F4: D1D3039D 0676170A
	v_max3_f32 v157, |v12|, |v13|, v157                        // 00000000B7FC: D1D3039D 06761B0C
	v_max3_f32 v157, |v14|, |v15|, v157                        // 00000000B804: D1D3039D 06761F0E
	v_max3_f32 v157, |v16|, |v17|, v157                        // 00000000B80C: D1D3039D 06762310
	v_max3_f32 v157, |v18|, |v19|, v157                        // 00000000B814: D1D3039D 06762712
	v_rcp_f32_e32 v157, v157                                   // 00000000B81C: 7F3A459D
	v_mov_b32_e32 v4, 0x43700000                               // 00000000B820: 7E0802FF 43700000
	v_mul_f32_e32 v157, v4, v157                               // 00000000B828: 0B3B3B04
	v_mov_b32_e32 v4, v157                                     // 00000000B82C: 7E08039D
	v_mov_b32_e32 v5, v4                                       // 00000000B830: 7E0A0304
	v_pk_mul_f32 v[88:89], v[4:5], v[88:89]                    // 00000000B834: D3B14058 1802B104
	v_pk_mul_f32 v[90:91], v[4:5], v[90:91]                    // 00000000B83C: D3B1405A 1802B504
	v_cvt_pk_fp8_f32 v88, v88, v89                             // 00000000B844: D2A20058 0002B358
	v_cvt_pk_fp8_f32 v88, v90, v91 op_sel:[0,0,1]              // 00000000B84C: D2A24058 0002B75A
	v_pk_mul_f32 v[100:101], v[4:5], v[100:101]                // 00000000B854: D3B14064 1802C904
	v_pk_mul_f32 v[102:103], v[4:5], v[102:103]                // 00000000B85C: D3B14066 1802CD04
	v_cvt_pk_fp8_f32 v100, v100, v101                          // 00000000B864: D2A20064 0002CB64
	v_cvt_pk_fp8_f32 v100, v102, v103 op_sel:[0,0,1]           // 00000000B86C: D2A24064 0002CF66
	v_rcp_f32_e32 v157, v157                                   // 00000000B874: 7F3A459D
	v_mov_b32_e32 v160, 0x358637bd                             // 00000000B878: 7F4002FF 358637BD
	v_max3_f32 v160, |v112|, |v113|, v160                      // 00000000B880: D1D303A0 0682E370
	v_max3_f32 v160, |v114|, |v115|, v160                      // 00000000B888: D1D303A0 0682E772
	v_max3_f32 v160, |v124|, |v125|, v160                      // 00000000B890: D1D303A0 0682FB7C
	v_max3_f32 v160, |v126|, |v127|, v160                      // 00000000B898: D1D303A0 0682FF7E
	ds_write_b32 v164, v160                                    // 00000000B8A0: D81A0000 0000A0A4
	s_waitcnt lgkmcnt(0)                                       // 00000000B8A8: BF8CC07F
	s_barrier                                                  // 00000000B8AC: BF8A0000
	ds_read_b32 v4, v165                                       // 00000000B8B0: D86C0000 040000A5
	ds_read_b32 v5, v165 offset:64                             // 00000000B8B8: D86C0040 050000A5
	ds_read_b32 v6, v165 offset:128                            // 00000000B8C0: D86C0080 060000A5
	ds_read_b32 v7, v165 offset:192                            // 00000000B8C8: D86C00C0 070000A5
	ds_read_b32 v8, v165 offset:256                            // 00000000B8D0: D86C0100 080000A5
	ds_read_b32 v9, v165 offset:320                            // 00000000B8D8: D86C0140 090000A5
	ds_read_b32 v10, v165 offset:384                           // 00000000B8E0: D86C0180 0A0000A5
	ds_read_b32 v11, v165 offset:448                           // 00000000B8E8: D86C01C0 0B0000A5
	ds_read_b32 v12, v165 offset:512                           // 00000000B8F0: D86C0200 0C0000A5
	ds_read_b32 v13, v165 offset:576                           // 00000000B8F8: D86C0240 0D0000A5
	ds_read_b32 v14, v165 offset:640                           // 00000000B900: D86C0280 0E0000A5
	ds_read_b32 v15, v165 offset:704                           // 00000000B908: D86C02C0 0F0000A5
	ds_read_b32 v16, v165 offset:768                           // 00000000B910: D86C0300 100000A5
	ds_read_b32 v17, v165 offset:832                           // 00000000B918: D86C0340 110000A5
	ds_read_b32 v18, v165 offset:896                           // 00000000B920: D86C0380 120000A5
	ds_read_b32 v19, v165 offset:960                           // 00000000B928: D86C03C0 130000A5
	s_waitcnt lgkmcnt(0)                                       // 00000000B930: BF8CC07F
	s_barrier                                                  // 00000000B934: BF8A0000
	v_max3_f32 v160, |v4|, |v5|, v160                          // 00000000B938: D1D303A0 06820B04
	v_max3_f32 v160, |v6|, |v7|, v160                          // 00000000B940: D1D303A0 06820F06
	v_max3_f32 v160, |v8|, |v9|, v160                          // 00000000B948: D1D303A0 06821308
	v_max3_f32 v160, |v10|, |v11|, v160                        // 00000000B950: D1D303A0 0682170A
	v_max3_f32 v160, |v12|, |v13|, v160                        // 00000000B958: D1D303A0 06821B0C
	v_max3_f32 v160, |v14|, |v15|, v160                        // 00000000B960: D1D303A0 06821F0E
	v_max3_f32 v160, |v16|, |v17|, v160                        // 00000000B968: D1D303A0 06822310
	v_max3_f32 v160, |v18|, |v19|, v160                        // 00000000B970: D1D303A0 06822712
	v_rcp_f32_e32 v160, v160                                   // 00000000B978: 7F4045A0
	v_mov_b32_e32 v4, 0x43700000                               // 00000000B97C: 7E0802FF 43700000
	v_mul_f32_e32 v160, v4, v160                               // 00000000B984: 0B414104
	v_mov_b32_e32 v4, v160                                     // 00000000B988: 7E0803A0
	v_mov_b32_e32 v5, v4                                       // 00000000B98C: 7E0A0304
	v_pk_mul_f32 v[112:113], v[4:5], v[112:113]                // 00000000B990: D3B14070 1802E104
	v_pk_mul_f32 v[114:115], v[4:5], v[114:115]                // 00000000B998: D3B14072 1802E504
	v_cvt_pk_fp8_f32 v112, v112, v113                          // 00000000B9A0: D2A20070 0002E370
	v_cvt_pk_fp8_f32 v112, v114, v115 op_sel:[0,0,1]           // 00000000B9A8: D2A24070 0002E772
	v_pk_mul_f32 v[124:125], v[4:5], v[124:125]                // 00000000B9B0: D3B1407C 1802F904
	v_pk_mul_f32 v[126:127], v[4:5], v[126:127]                // 00000000B9B8: D3B1407E 1802FD04
	v_cvt_pk_fp8_f32 v124, v124, v125                          // 00000000B9C0: D2A2007C 0002FB7C
	v_cvt_pk_fp8_f32 v124, v126, v127 op_sel:[0,0,1]           // 00000000B9C8: D2A2407C 0002FF7E
	v_rcp_f32_e32 v160, v160                                   // 00000000B9D0: 7F4045A0
	v_mov_b32_e32 v163, 0x358637bd                             // 00000000B9D4: 7F4602FF 358637BD
	v_max3_f32 v163, |v136|, |v137|, v163                      // 00000000B9DC: D1D303A3 068F1388
	v_max3_f32 v163, |v138|, |v139|, v163                      // 00000000B9E4: D1D303A3 068F178A
	v_max3_f32 v163, |v148|, |v149|, v163                      // 00000000B9EC: D1D303A3 068F2B94
	v_max3_f32 v163, |v150|, |v151|, v163                      // 00000000B9F4: D1D303A3 068F2F96
	ds_write_b32 v164, v163                                    // 00000000B9FC: D81A0000 0000A3A4
	s_waitcnt lgkmcnt(0)                                       // 00000000BA04: BF8CC07F
	s_barrier                                                  // 00000000BA08: BF8A0000
	ds_read_b32 v4, v165                                       // 00000000BA0C: D86C0000 040000A5
	ds_read_b32 v5, v165 offset:64                             // 00000000BA14: D86C0040 050000A5
	ds_read_b32 v6, v165 offset:128                            // 00000000BA1C: D86C0080 060000A5
	ds_read_b32 v7, v165 offset:192                            // 00000000BA24: D86C00C0 070000A5
	ds_read_b32 v8, v165 offset:256                            // 00000000BA2C: D86C0100 080000A5
	ds_read_b32 v9, v165 offset:320                            // 00000000BA34: D86C0140 090000A5
	ds_read_b32 v10, v165 offset:384                           // 00000000BA3C: D86C0180 0A0000A5
	ds_read_b32 v11, v165 offset:448                           // 00000000BA44: D86C01C0 0B0000A5
	ds_read_b32 v12, v165 offset:512                           // 00000000BA4C: D86C0200 0C0000A5
	ds_read_b32 v13, v165 offset:576                           // 00000000BA54: D86C0240 0D0000A5
	ds_read_b32 v14, v165 offset:640                           // 00000000BA5C: D86C0280 0E0000A5
	ds_read_b32 v15, v165 offset:704                           // 00000000BA64: D86C02C0 0F0000A5
	ds_read_b32 v16, v165 offset:768                           // 00000000BA6C: D86C0300 100000A5
	ds_read_b32 v17, v165 offset:832                           // 00000000BA74: D86C0340 110000A5
	ds_read_b32 v18, v165 offset:896                           // 00000000BA7C: D86C0380 120000A5
	ds_read_b32 v19, v165 offset:960                           // 00000000BA84: D86C03C0 130000A5
	s_waitcnt lgkmcnt(0)                                       // 00000000BA8C: BF8CC07F
	s_barrier                                                  // 00000000BA90: BF8A0000
	v_max3_f32 v163, |v4|, |v5|, v163                          // 00000000BA94: D1D303A3 068E0B04
	v_max3_f32 v163, |v6|, |v7|, v163                          // 00000000BA9C: D1D303A3 068E0F06
	v_max3_f32 v163, |v8|, |v9|, v163                          // 00000000BAA4: D1D303A3 068E1308
	v_max3_f32 v163, |v10|, |v11|, v163                        // 00000000BAAC: D1D303A3 068E170A
	v_max3_f32 v163, |v12|, |v13|, v163                        // 00000000BAB4: D1D303A3 068E1B0C
	v_max3_f32 v163, |v14|, |v15|, v163                        // 00000000BABC: D1D303A3 068E1F0E
	v_max3_f32 v163, |v16|, |v17|, v163                        // 00000000BAC4: D1D303A3 068E2310
	v_max3_f32 v163, |v18|, |v19|, v163                        // 00000000BACC: D1D303A3 068E2712
	v_rcp_f32_e32 v163, v163                                   // 00000000BAD4: 7F4645A3
	v_mov_b32_e32 v4, 0x43700000                               // 00000000BAD8: 7E0802FF 43700000
	v_mul_f32_e32 v163, v4, v163                               // 00000000BAE0: 0B474704
	v_mov_b32_e32 v4, v163                                     // 00000000BAE4: 7E0803A3
	v_mov_b32_e32 v5, v4                                       // 00000000BAE8: 7E0A0304
	v_pk_mul_f32 v[136:137], v[4:5], v[136:137]                // 00000000BAEC: D3B14088 18031104
	v_pk_mul_f32 v[138:139], v[4:5], v[138:139]                // 00000000BAF4: D3B1408A 18031504
	v_cvt_pk_fp8_f32 v136, v136, v137                          // 00000000BAFC: D2A20088 00031388
	v_cvt_pk_fp8_f32 v136, v138, v139 op_sel:[0,0,1]           // 00000000BB04: D2A24088 0003178A
	v_pk_mul_f32 v[148:149], v[4:5], v[148:149]                // 00000000BB0C: D3B14094 18032904
	v_pk_mul_f32 v[150:151], v[4:5], v[150:151]                // 00000000BB14: D3B14096 18032D04
	v_cvt_pk_fp8_f32 v148, v148, v149                          // 00000000BB1C: D2A20094 00032B94
	v_cvt_pk_fp8_f32 v148, v150, v151 op_sel:[0,0,1]           // 00000000BB24: D2A24094 00032F96
	v_rcp_f32_e32 v163, v163                                   // 00000000BB2C: 7F4645A3
	v_lshrrev_b32_e32 v4, 5, v0                                // 00000000BB30: 20080085
	v_mul_lo_u32 v20, 34, v4                                   // 00000000BB34: D2850014 000208A2
	v_and_b32_e32 v4, 31, v0                                   // 00000000BB3C: 2608009F
	v_lshrrev_b32_e32 v5, 4, v4                                // 00000000BB40: 200A0884
	v_add_u32_e32 v20, v5, v20                                 // 00000000BB44: 68282905
	v_and_b32_e32 v4, 15, v0                                   // 00000000BB48: 2608008F
	v_mul_lo_u32 v5, 2, v4                                     // 00000000BB4C: D2850005 00020882
	v_add_u32_e32 v20, v5, v20                                 // 00000000BB54: 68282905
	s_mul_i32 s60, s7, 0x44                                    // 00000000BB58: 923CFF07 00000044
	v_add_u32_e32 v20, s60, v20                                // 00000000BB60: 6828283C
	v_lshlrev_b32_e32 v20, 2, v20                              // 00000000BB64: 24282882
	ds_write_b32 v20, v56                                      // 00000000BB68: D81A0000 00003814
	ds_write_b32 v20, v60 offset:8704                          // 00000000BB70: D81A2200 00003C14
	ds_write_b32 v20, v64 offset:17408                         // 00000000BB78: D81A4400 00004014
	ds_write_b32 v20, v68 offset:1088                          // 00000000BB80: D81A0440 00004414
	ds_write_b32 v20, v72 offset:9792                          // 00000000BB88: D81A2640 00004814
	ds_write_b32 v20, v76 offset:18496                         // 00000000BB90: D81A4840 00004C14
	ds_write_b32 v20, v80 offset:2176                          // 00000000BB98: D81A0880 00005014
	ds_write_b32 v20, v84 offset:10880                         // 00000000BBA0: D81A2A80 00005414
	ds_write_b32 v20, v88 offset:19584                         // 00000000BBA8: D81A4C80 00005814
	ds_write_b32 v20, v92 offset:3264                          // 00000000BBB0: D81A0CC0 00005C14
	ds_write_b32 v20, v96 offset:11968                         // 00000000BBB8: D81A2EC0 00006014
	ds_write_b32 v20, v100 offset:20672                        // 00000000BBC0: D81A50C0 00006414
	ds_write_b32 v20, v104 offset:4352                         // 00000000BBC8: D81A1100 00006814
	ds_write_b32 v20, v108 offset:13056                        // 00000000BBD0: D81A3300 00006C14
	ds_write_b32 v20, v112 offset:21760                        // 00000000BBD8: D81A5500 00007014
	ds_write_b32 v20, v116 offset:5440                         // 00000000BBE0: D81A1540 00007414
	ds_write_b32 v20, v120 offset:14144                        // 00000000BBE8: D81A3740 00007814
	ds_write_b32 v20, v124 offset:22848                        // 00000000BBF0: D81A5940 00007C14
	ds_write_b32 v20, v128 offset:6528                         // 00000000BBF8: D81A1980 00008014
	ds_write_b32 v20, v132 offset:15232                        // 00000000BC00: D81A3B80 00008414
	ds_write_b32 v20, v136 offset:23936                        // 00000000BC08: D81A5D80 00008814
	ds_write_b32 v20, v140 offset:7616                         // 00000000BC10: D81A1DC0 00008C14
	ds_write_b32 v20, v144 offset:16320                        // 00000000BC18: D81A3FC0 00009014
	ds_write_b32 v20, v148 offset:25024                        // 00000000BC20: D81A61C0 00009414
	v_lshrrev_b32_e32 v4, 5, v0                                // 00000000BC28: 20080085
	v_xor_b32_e32 v5, 1, v4                                    // 00000000BC2C: 2A0A0881
	s_mul_i32 s60, s65, 1                                      // 00000000BC30: 923C8141
	s_cmp_eq_u32 s88, 0                                        // 00000000BC34: BF068058
	s_cselect_b32 s61, 1, 8                                    // 00000000BC38: 853D8881
	s_mul_i32 s60, s61, s60                                    // 00000000BC3C: 923C3C3D
	v_readlane_b32 s82, v3, 0                                  // 00000000BC40: D2890052 00010103
	s_lshr_b32 s61, s82, 24                                    // 00000000BC48: 8F3D9852
	s_and_b32 s82, s82, 0xffffff                               // 00000000BC4C: 8652FF52 00FFFFFF
	s_mul_i32 s82, s82, s71                                    // 00000000BC54: 92524752
	s_mul_i32 s61, s60, s61                                    // 00000000BC58: 923D3D3C
	s_add_u32 s82, s82, s61                                    // 00000000BC5C: 80523D52
	v_mul_lo_u32 v6, v5, s82                                   // 00000000BC60: D2850006 0000A505
	v_readlane_b32 s82, v3, 1                                  // 00000000BC68: D2890052 00010303
	s_lshr_b32 s61, s82, 24                                    // 00000000BC70: 8F3D9852
	s_and_b32 s82, s82, 0xffffff                               // 00000000BC74: 8652FF52 00FFFFFF
	s_mul_i32 s82, s82, s71                                    // 00000000BC7C: 92524752
	s_mul_i32 s61, s60, s61                                    // 00000000BC80: 923D3D3C
	s_add_u32 s82, s82, s61                                    // 00000000BC84: 80523D52
	v_mul_lo_u32 v7, v4, s82                                   // 00000000BC88: D2850007 0000A504
	v_add_u32_e32 v42, v6, v7                                  // 00000000BC90: 68540F06
	v_readlane_b32 s82, v3, 2                                  // 00000000BC94: D2890052 00010503
	s_lshr_b32 s61, s82, 24                                    // 00000000BC9C: 8F3D9852
	s_and_b32 s82, s82, 0xffffff                               // 00000000BCA0: 8652FF52 00FFFFFF
	s_mul_i32 s82, s82, s71                                    // 00000000BCA8: 92524752
	s_mul_i32 s61, s60, s61                                    // 00000000BCAC: 923D3D3C
	s_add_u32 s82, s82, s61                                    // 00000000BCB0: 80523D52
	v_mul_lo_u32 v6, v5, s82                                   // 00000000BCB4: D2850006 0000A505
	v_readlane_b32 s82, v3, 3                                  // 00000000BCBC: D2890052 00010703
	s_lshr_b32 s61, s82, 24                                    // 00000000BCC4: 8F3D9852
	s_and_b32 s82, s82, 0xffffff                               // 00000000BCC8: 8652FF52 00FFFFFF
	s_mul_i32 s82, s82, s71                                    // 00000000BCD0: 92524752
	s_mul_i32 s61, s60, s61                                    // 00000000BCD4: 923D3D3C
	s_add_u32 s82, s82, s61                                    // 00000000BCD8: 80523D52
	v_mul_lo_u32 v7, v4, s82                                   // 00000000BCDC: D2850007 0000A504
	v_add_u32_e32 v43, v6, v7                                  // 00000000BCE4: 68560F06
	v_readlane_b32 s82, v3, 4                                  // 00000000BCE8: D2890052 00010903
	s_lshr_b32 s61, s82, 24                                    // 00000000BCF0: 8F3D9852
	s_and_b32 s82, s82, 0xffffff                               // 00000000BCF4: 8652FF52 00FFFFFF
	s_mul_i32 s82, s82, s71                                    // 00000000BCFC: 92524752
	s_mul_i32 s61, s60, s61                                    // 00000000BD00: 923D3D3C
	s_add_u32 s82, s82, s61                                    // 00000000BD04: 80523D52
	v_mul_lo_u32 v6, v5, s82                                   // 00000000BD08: D2850006 0000A505
	v_readlane_b32 s82, v3, 5                                  // 00000000BD10: D2890052 00010B03
	s_lshr_b32 s61, s82, 24                                    // 00000000BD18: 8F3D9852
	s_and_b32 s82, s82, 0xffffff                               // 00000000BD1C: 8652FF52 00FFFFFF
	s_mul_i32 s82, s82, s71                                    // 00000000BD24: 92524752
	s_mul_i32 s61, s60, s61                                    // 00000000BD28: 923D3D3C
	s_add_u32 s82, s82, s61                                    // 00000000BD2C: 80523D52
	v_mul_lo_u32 v7, v4, s82                                   // 00000000BD30: D2850007 0000A504
	v_add_u32_e32 v44, v6, v7                                  // 00000000BD38: 68580F06
	v_readlane_b32 s82, v3, 6                                  // 00000000BD3C: D2890052 00010D03
	s_lshr_b32 s61, s82, 24                                    // 00000000BD44: 8F3D9852
	s_and_b32 s82, s82, 0xffffff                               // 00000000BD48: 8652FF52 00FFFFFF
	s_mul_i32 s82, s82, s71                                    // 00000000BD50: 92524752
	s_mul_i32 s61, s60, s61                                    // 00000000BD54: 923D3D3C
	s_add_u32 s82, s82, s61                                    // 00000000BD58: 80523D52
	v_mul_lo_u32 v6, v5, s82                                   // 00000000BD5C: D2850006 0000A505
	v_readlane_b32 s82, v3, 7                                  // 00000000BD64: D2890052 00010F03
	s_lshr_b32 s61, s82, 24                                    // 00000000BD6C: 8F3D9852
	s_and_b32 s82, s82, 0xffffff                               // 00000000BD70: 8652FF52 00FFFFFF
	s_mul_i32 s82, s82, s71                                    // 00000000BD78: 92524752
	s_mul_i32 s61, s60, s61                                    // 00000000BD7C: 923D3D3C
	s_add_u32 s82, s82, s61                                    // 00000000BD80: 80523D52
	v_mul_lo_u32 v7, v4, s82                                   // 00000000BD84: D2850007 0000A504
	v_add_u32_e32 v45, v6, v7                                  // 00000000BD8C: 685A0F06
	v_readlane_b32 s82, v3, 8                                  // 00000000BD90: D2890052 00011103
	s_lshr_b32 s61, s82, 24                                    // 00000000BD98: 8F3D9852
	s_and_b32 s82, s82, 0xffffff                               // 00000000BD9C: 8652FF52 00FFFFFF
	s_mul_i32 s82, s82, s71                                    // 00000000BDA4: 92524752
	s_mul_i32 s61, s60, s61                                    // 00000000BDA8: 923D3D3C
	s_add_u32 s82, s82, s61                                    // 00000000BDAC: 80523D52
	v_mul_lo_u32 v6, v5, s82                                   // 00000000BDB0: D2850006 0000A505
	v_readlane_b32 s82, v3, 9                                  // 00000000BDB8: D2890052 00011303
	s_lshr_b32 s61, s82, 24                                    // 00000000BDC0: 8F3D9852
	s_and_b32 s82, s82, 0xffffff                               // 00000000BDC4: 8652FF52 00FFFFFF
	s_mul_i32 s82, s82, s71                                    // 00000000BDCC: 92524752
	s_mul_i32 s61, s60, s61                                    // 00000000BDD0: 923D3D3C
	s_add_u32 s82, s82, s61                                    // 00000000BDD4: 80523D52
	v_mul_lo_u32 v7, v4, s82                                   // 00000000BDD8: D2850007 0000A504
	v_add_u32_e32 v46, v6, v7                                  // 00000000BDE0: 685C0F06
	v_readlane_b32 s82, v3, 10                                 // 00000000BDE4: D2890052 00011503
	s_lshr_b32 s61, s82, 24                                    // 00000000BDEC: 8F3D9852
	s_and_b32 s82, s82, 0xffffff                               // 00000000BDF0: 8652FF52 00FFFFFF
	s_mul_i32 s82, s82, s71                                    // 00000000BDF8: 92524752
	s_mul_i32 s61, s60, s61                                    // 00000000BDFC: 923D3D3C
	s_add_u32 s82, s82, s61                                    // 00000000BE00: 80523D52
	v_mul_lo_u32 v6, v5, s82                                   // 00000000BE04: D2850006 0000A505
	v_readlane_b32 s82, v3, 11                                 // 00000000BE0C: D2890052 00011703
	s_lshr_b32 s61, s82, 24                                    // 00000000BE14: 8F3D9852
	s_and_b32 s82, s82, 0xffffff                               // 00000000BE18: 8652FF52 00FFFFFF
	s_mul_i32 s82, s82, s71                                    // 00000000BE20: 92524752
	s_mul_i32 s61, s60, s61                                    // 00000000BE24: 923D3D3C
	s_add_u32 s82, s82, s61                                    // 00000000BE28: 80523D52
	v_mul_lo_u32 v7, v4, s82                                   // 00000000BE2C: D2850007 0000A504
	v_add_u32_e32 v47, v6, v7                                  // 00000000BE34: 685E0F06
	v_and_b32_e32 v4, 31, v0                                   // 00000000BE38: 2608009F
	v_lshrrev_b32_e32 v4, 1, v4                                // 00000000BE3C: 20080881
	s_cmp_eq_u32 s88, 0                                        // 00000000BE40: BF068058
	s_cselect_b32 s61, 2, 4                                    // 00000000BE44: 853D8482
	v_mul_lo_u32 v4, v4, s61                                   // 00000000BE48: D2850004 00007B04
	v_and_b32_e64 v5, v0, 1                                    // 00000000BE50: D1130005 00010300
	v_add_u32_e32 v4, v4, v5                                   // 00000000BE58: 68080B04
	v_lshlrev_b32_e32 v4, 2, v4                                // 00000000BE5C: 24080882
	v_add_u32_e32 v42, v42, v4                                 // 00000000BE60: 6854092A
	v_add_u32_e32 v43, v43, v4                                 // 00000000BE64: 6856092B
	v_add_u32_e32 v44, v44, v4                                 // 00000000BE68: 6858092C
	v_add_u32_e32 v45, v45, v4                                 // 00000000BE6C: 685A092D
	v_add_u32_e32 v46, v46, v4                                 // 00000000BE70: 685C092E
	v_add_u32_e32 v47, v47, v4                                 // 00000000BE74: 685E092F
	s_waitcnt lgkmcnt(0)                                       // 00000000BE78: BF8CC07F
	s_barrier                                                  // 00000000BE7C: BF8A0000
	ds_read_b32 v56, v21                                       // 00000000BE80: D86C0000 38000015
	ds_read_b32 v57, v21 offset:64                             // 00000000BE88: D86C0040 39000015
	ds_read_b32 v58, v21 offset:2176                           // 00000000BE90: D86C0880 3A000015
	ds_read_b32 v59, v21 offset:2240                           // 00000000BE98: D86C08C0 3B000015
	ds_read_b32 v60, v21 offset:4352                           // 00000000BEA0: D86C1100 3C000015
	ds_read_b32 v61, v21 offset:4416                           // 00000000BEA8: D86C1140 3D000015
	ds_read_b32 v62, v21 offset:6528                           // 00000000BEB0: D86C1980 3E000015
	ds_read_b32 v63, v21 offset:6592                           // 00000000BEB8: D86C19C0 3F000015
	ds_read_b32 v64, v21 offset:8704                           // 00000000BEC0: D86C2200 40000015
	ds_read_b32 v65, v21 offset:8768                           // 00000000BEC8: D86C2240 41000015
	ds_read_b32 v66, v21 offset:10880                          // 00000000BED0: D86C2A80 42000015
	ds_read_b32 v67, v21 offset:10944                          // 00000000BED8: D86C2AC0 43000015
	ds_read_b32 v68, v21 offset:13056                          // 00000000BEE0: D86C3300 44000015
	ds_read_b32 v69, v21 offset:13120                          // 00000000BEE8: D86C3340 45000015
	ds_read_b32 v70, v21 offset:15232                          // 00000000BEF0: D86C3B80 46000015
	ds_read_b32 v71, v21 offset:15296                          // 00000000BEF8: D86C3BC0 47000015
	ds_read_b32 v72, v21 offset:17408                          // 00000000BF00: D86C4400 48000015
	ds_read_b32 v73, v21 offset:17472                          // 00000000BF08: D86C4440 49000015
	ds_read_b32 v74, v21 offset:19584                          // 00000000BF10: D86C4C80 4A000015
	ds_read_b32 v75, v21 offset:19648                          // 00000000BF18: D86C4CC0 4B000015
	ds_read_b32 v76, v21 offset:21760                          // 00000000BF20: D86C5500 4C000015
	ds_read_b32 v77, v21 offset:21824                          // 00000000BF28: D86C5540 4D000015
	ds_read_b32 v78, v21 offset:23936                          // 00000000BF30: D86C5D80 4E000015
	ds_read_b32 v79, v21 offset:24000                          // 00000000BF38: D86C5DC0 4F000015
	s_waitcnt lgkmcnt(0)                                       // 00000000BF40: BF8CC07F
	s_mov_b32 s36, -1                                          // 00000000BF44: BEA400C1
	s_mov_b32 s37, -1                                          // 00000000BF48: BEA500C1
	v_mov_b32_e32 v7, 0                                        // 00000000BF4C: 7E0E0280
	s_or_b32 s9, s9, 0x40000                                   // 00000000BF50: 8709FF09 00040000
	s_mov_b64 exec, s[36:37]                                   // 00000000BF58: BEFE0124
	v_mov_b32_e32 v6, v42                                      // 00000000BF5C: 7E0C032A
	s_mov_b64 s[60:61], 0                                      // 00000000BF60: BEBC0180
	v_readlane_b32 s82, v3, 0                                  // 00000000BF64: D2890052 00010103
	s_and_b32 s82, s82, 0xffffff                               // 00000000BF6C: 8652FF52 00FFFFFF
	s_cmp_lt_u32 s82, s66                                      // 00000000BF74: BF0A4252
	s_cselect_b32 s20, s36, s60                                // 00000000BF78: 85143C24
	v_readlane_b32 s82, v3, 1                                  // 00000000BF7C: D2890052 00010303
	s_and_b32 s82, s82, 0xffffff                               // 00000000BF84: 8652FF52 00FFFFFF
	s_cmp_lt_u32 s82, s66                                      // 00000000BF8C: BF0A4252
	s_cselect_b32 s21, s36, s60                                // 00000000BF90: 85153C24
	s_mov_b64 exec, s[20:21]                                   // 00000000BF94: BEFE0114
	buffer_store_dword v56, v6, s[8:11], 0 offen               // 00000000BF98: E0701000 80023806
	buffer_store_dword v58, v6, s[8:11], 0 offen offset:128    // 00000000BFA0: E0701080 80023A06
	buffer_store_dword v60, v6, s[8:11], 0 offen offset:256    // 00000000BFA8: E0701100 80023C06
	buffer_store_dword v62, v6, s[8:11], 0 offen offset:384    // 00000000BFB0: E0701180 80023E06
	s_mov_b64 exec, s[36:37]                                   // 00000000BFB8: BEFE0124
	v_mov_b32_e32 v6, v43                                      // 00000000BFBC: 7E0C032B
	s_mov_b64 s[60:61], 0                                      // 00000000BFC0: BEBC0180
	v_readlane_b32 s82, v3, 2                                  // 00000000BFC4: D2890052 00010503
	s_and_b32 s82, s82, 0xffffff                               // 00000000BFCC: 8652FF52 00FFFFFF
	s_cmp_lt_u32 s82, s66                                      // 00000000BFD4: BF0A4252
	s_cselect_b32 s20, s36, s60                                // 00000000BFD8: 85143C24
	v_readlane_b32 s82, v3, 3                                  // 00000000BFDC: D2890052 00010703
	s_and_b32 s82, s82, 0xffffff                               // 00000000BFE4: 8652FF52 00FFFFFF
	s_cmp_lt_u32 s82, s66                                      // 00000000BFEC: BF0A4252
	s_cselect_b32 s21, s36, s60                                // 00000000BFF0: 85153C24
	s_mov_b64 exec, s[20:21]                                   // 00000000BFF4: BEFE0114
	buffer_store_dword v57, v6, s[8:11], 0 offen               // 00000000BFF8: E0701000 80023906
	buffer_store_dword v59, v6, s[8:11], 0 offen offset:128    // 00000000C000: E0701080 80023B06
	buffer_store_dword v61, v6, s[8:11], 0 offen offset:256    // 00000000C008: E0701100 80023D06
	buffer_store_dword v63, v6, s[8:11], 0 offen offset:384    // 00000000C010: E0701180 80023F06
	s_mov_b64 exec, s[36:37]                                   // 00000000C018: BEFE0124
	v_mov_b32_e32 v6, v44                                      // 00000000C01C: 7E0C032C
	s_mov_b64 s[60:61], 0                                      // 00000000C020: BEBC0180
	v_readlane_b32 s82, v3, 4                                  // 00000000C024: D2890052 00010903
	s_and_b32 s82, s82, 0xffffff                               // 00000000C02C: 8652FF52 00FFFFFF
	s_cmp_lt_u32 s82, s66                                      // 00000000C034: BF0A4252
	s_cselect_b32 s20, s36, s60                                // 00000000C038: 85143C24
	v_readlane_b32 s82, v3, 5                                  // 00000000C03C: D2890052 00010B03
	s_and_b32 s82, s82, 0xffffff                               // 00000000C044: 8652FF52 00FFFFFF
	s_cmp_lt_u32 s82, s66                                      // 00000000C04C: BF0A4252
	s_cselect_b32 s21, s36, s60                                // 00000000C050: 85153C24
	s_mov_b64 exec, s[20:21]                                   // 00000000C054: BEFE0114
	buffer_store_dword v64, v6, s[8:11], 0 offen               // 00000000C058: E0701000 80024006
	buffer_store_dword v66, v6, s[8:11], 0 offen offset:128    // 00000000C060: E0701080 80024206
	buffer_store_dword v68, v6, s[8:11], 0 offen offset:256    // 00000000C068: E0701100 80024406
	buffer_store_dword v70, v6, s[8:11], 0 offen offset:384    // 00000000C070: E0701180 80024606
	s_mov_b64 exec, s[36:37]                                   // 00000000C078: BEFE0124
	v_mov_b32_e32 v6, v45                                      // 00000000C07C: 7E0C032D
	s_mov_b64 s[60:61], 0                                      // 00000000C080: BEBC0180
	v_readlane_b32 s82, v3, 6                                  // 00000000C084: D2890052 00010D03
	s_and_b32 s82, s82, 0xffffff                               // 00000000C08C: 8652FF52 00FFFFFF
	s_cmp_lt_u32 s82, s66                                      // 00000000C094: BF0A4252
	s_cselect_b32 s20, s36, s60                                // 00000000C098: 85143C24
	v_readlane_b32 s82, v3, 7                                  // 00000000C09C: D2890052 00010F03
	s_and_b32 s82, s82, 0xffffff                               // 00000000C0A4: 8652FF52 00FFFFFF
	s_cmp_lt_u32 s82, s66                                      // 00000000C0AC: BF0A4252
	s_cselect_b32 s21, s36, s60                                // 00000000C0B0: 85153C24
	s_mov_b64 exec, s[20:21]                                   // 00000000C0B4: BEFE0114
	buffer_store_dword v65, v6, s[8:11], 0 offen               // 00000000C0B8: E0701000 80024106
	buffer_store_dword v67, v6, s[8:11], 0 offen offset:128    // 00000000C0C0: E0701080 80024306
	buffer_store_dword v69, v6, s[8:11], 0 offen offset:256    // 00000000C0C8: E0701100 80024506
	buffer_store_dword v71, v6, s[8:11], 0 offen offset:384    // 00000000C0D0: E0701180 80024706
	s_mov_b64 exec, s[36:37]                                   // 00000000C0D8: BEFE0124
	v_mov_b32_e32 v6, v46                                      // 00000000C0DC: 7E0C032E
	s_mov_b64 s[60:61], 0                                      // 00000000C0E0: BEBC0180
	v_readlane_b32 s82, v3, 8                                  // 00000000C0E4: D2890052 00011103
	s_and_b32 s82, s82, 0xffffff                               // 00000000C0EC: 8652FF52 00FFFFFF
	s_cmp_lt_u32 s82, s66                                      // 00000000C0F4: BF0A4252
	s_cselect_b32 s20, s36, s60                                // 00000000C0F8: 85143C24
	v_readlane_b32 s82, v3, 9                                  // 00000000C0FC: D2890052 00011303
	s_and_b32 s82, s82, 0xffffff                               // 00000000C104: 8652FF52 00FFFFFF
	s_cmp_lt_u32 s82, s66                                      // 00000000C10C: BF0A4252
	s_cselect_b32 s21, s36, s60                                // 00000000C110: 85153C24
	s_mov_b64 exec, s[20:21]                                   // 00000000C114: BEFE0114
	buffer_store_dword v72, v6, s[8:11], 0 offen               // 00000000C118: E0701000 80024806
	buffer_store_dword v74, v6, s[8:11], 0 offen offset:128    // 00000000C120: E0701080 80024A06
	buffer_store_dword v76, v6, s[8:11], 0 offen offset:256    // 00000000C128: E0701100 80024C06
	buffer_store_dword v78, v6, s[8:11], 0 offen offset:384    // 00000000C130: E0701180 80024E06
	s_mov_b64 exec, s[36:37]                                   // 00000000C138: BEFE0124
	v_mov_b32_e32 v6, v47                                      // 00000000C13C: 7E0C032F
	s_mov_b64 s[60:61], 0                                      // 00000000C140: BEBC0180
	v_readlane_b32 s82, v3, 10                                 // 00000000C144: D2890052 00011503
	s_and_b32 s82, s82, 0xffffff                               // 00000000C14C: 8652FF52 00FFFFFF
	s_cmp_lt_u32 s82, s66                                      // 00000000C154: BF0A4252
	s_cselect_b32 s20, s36, s60                                // 00000000C158: 85143C24
	v_readlane_b32 s82, v3, 11                                 // 00000000C15C: D2890052 00011703
	s_and_b32 s82, s82, 0xffffff                               // 00000000C164: 8652FF52 00FFFFFF
	s_cmp_lt_u32 s82, s66                                      // 00000000C16C: BF0A4252
	s_cselect_b32 s21, s36, s60                                // 00000000C170: 85153C24
	s_mov_b64 exec, s[20:21]                                   // 00000000C174: BEFE0114
	buffer_store_dword v73, v6, s[8:11], 0 offen               // 00000000C178: E0701000 80024906
	buffer_store_dword v75, v6, s[8:11], 0 offen offset:128    // 00000000C180: E0701080 80024B06
	buffer_store_dword v77, v6, s[8:11], 0 offen offset:256    // 00000000C188: E0701100 80024D06
	buffer_store_dword v79, v6, s[8:11], 0 offen offset:384    // 00000000C190: E0701180 80024F06
	s_mov_b64 exec, s[36:37]                                   // 00000000C198: BEFE0124
	s_cmp_eq_u32 s7, 0                                         // 00000000C19C: BF068007
	s_cbranch_scc0 label_553E                                  // 00000000C1A0: BF842F52
	s_waitcnt vmcnt(24)                                        // 00000000C1A4: BF8C4F78
	s_mov_b32 s8, s90                                          // 00000000C1A8: BE88005A
	s_mov_b32 s9, s91                                          // 00000000C1AC: BE89005B
	s_mul_i32 s60, s66, s71                                    // 00000000C1B0: 923C4742
	s_add_u32 s8, s60, s8                                      // 00000000C1B4: 8008083C
	s_addc_u32 s9, 0, s9                                       // 00000000C1B8: 82090980
	s_lshr_b32 s71, s71, 5                                     // 00000000C1BC: 8F478547
	s_mul_i32 s60, s66, s71                                    // 00000000C1C0: 923C4742
	s_mov_b32 s10, s60                                         // 00000000C1C4: BE8A003C
	s_lshr_b32 s61, s65, 5                                     // 00000000C1C8: 8F3D8541
	s_mul_i32 s60, s2, 16                                      // 00000000C1CC: 923C9002
	v_lshrrev_b32_e32 v4, 24, v30                              // 00000000C1D0: 20083C98
	v_mul_lo_u32 v4, s61, v4                                   // 00000000C1D4: D2850004 0002083D
	v_and_b32_e32 v30, 0xffffff, v30                           // 00000000C1DC: 263C3CFF 00FFFFFF
	v_mul_lo_u32 v30, s71, v30                                 // 00000000C1E4: D285001E 00023C47
	v_add_u32_e32 v30, v4, v30                                 // 00000000C1EC: 683C3D04
	v_add_u32_e32 v30, s60, v30                                // 00000000C1F0: 683C3C3C
	v_lshrrev_b32_e32 v4, 24, v31                              // 00000000C1F4: 20083E98
	v_mul_lo_u32 v4, s61, v4                                   // 00000000C1F8: D2850004 0002083D
	v_and_b32_e32 v31, 0xffffff, v31                           // 00000000C200: 263E3EFF 00FFFFFF
	v_mul_lo_u32 v31, s71, v31                                 // 00000000C208: D285001F 00023E47
	v_add_u32_e32 v31, v4, v31                                 // 00000000C210: 683E3F04
	v_add_u32_e32 v31, s60, v31                                // 00000000C214: 683E3E3C
	v_lshrrev_b32_e32 v4, 24, v32                              // 00000000C218: 20084098
	v_mul_lo_u32 v4, s61, v4                                   // 00000000C21C: D2850004 0002083D
	v_and_b32_e32 v32, 0xffffff, v32                           // 00000000C224: 264040FF 00FFFFFF
	v_mul_lo_u32 v32, s71, v32                                 // 00000000C22C: D2850020 00024047
	v_add_u32_e32 v32, v4, v32                                 // 00000000C234: 68404104
	v_add_u32_e32 v32, s60, v32                                // 00000000C238: 6840403C
	s_mov_b64 exec, 0xffff                                     // 00000000C23C: BEFE01FF 0000FFFF
	buffer_store_dword v152, v30, s[8:11], 0 offen             // 00000000C244: E0701000 8002981E
	buffer_store_dword v155, v30, s[8:11], 0 offen offset:4    // 00000000C24C: E0701004 80029B1E
	buffer_store_dword v158, v30, s[8:11], 0 offen offset:8    // 00000000C254: E0701008 80029E1E
	buffer_store_dword v161, v30, s[8:11], 0 offen offset:12   // 00000000C25C: E070100C 8002A11E
	buffer_store_dword v153, v31, s[8:11], 0 offen             // 00000000C264: E0701000 8002991F
	buffer_store_dword v156, v31, s[8:11], 0 offen offset:4    // 00000000C26C: E0701004 80029C1F
	buffer_store_dword v159, v31, s[8:11], 0 offen offset:8    // 00000000C274: E0701008 80029F1F
	buffer_store_dword v162, v31, s[8:11], 0 offen offset:12   // 00000000C27C: E070100C 8002A21F
	buffer_store_dword v154, v32, s[8:11], 0 offen             // 00000000C284: E0701000 80029A20
	buffer_store_dword v157, v32, s[8:11], 0 offen offset:4    // 00000000C28C: E0701004 80029D20
	buffer_store_dword v160, v32, s[8:11], 0 offen offset:8    // 00000000C294: E0701008 8002A020
	buffer_store_dword v163, v32, s[8:11], 0 offen offset:12   // 00000000C29C: E070100C 8002A320
	s_mov_b64 exec, s[36:37]                                   // 00000000C2A4: BEFE0124
	s_branch label_553E                                        // 00000000C2A8: BF822F10

000000000000c2ac <label_262B>:
	ds_write_b64 v20, v[56:57]                                 // 00000000C2AC: D89A0000 00003814
	ds_write_b64 v20, v[60:61] offset:17408                    // 00000000C2B4: D89A4400 00003C14
	ds_write_b64 v20, v[64:65] offset:34816                    // 00000000C2BC: D89A8800 00004014
	ds_write_b64 v20, v[68:69] offset:2176                     // 00000000C2C4: D89A0880 00004414
	ds_write_b64 v20, v[72:73] offset:19584                    // 00000000C2CC: D89A4C80 00004814
	ds_write_b64 v20, v[76:77] offset:36992                    // 00000000C2D4: D89A9080 00004C14
	ds_write_b64 v20, v[80:81] offset:4352                     // 00000000C2DC: D89A1100 00005014
	ds_write_b64 v20, v[84:85] offset:21760                    // 00000000C2E4: D89A5500 00005414
	ds_write_b64 v20, v[88:89] offset:39168                    // 00000000C2EC: D89A9900 00005814
	ds_write_b64 v20, v[92:93] offset:6528                     // 00000000C2F4: D89A1980 00005C14
	ds_write_b64 v20, v[96:97] offset:23936                    // 00000000C2FC: D89A5D80 00006014
	ds_write_b64 v20, v[100:101] offset:41344                  // 00000000C304: D89AA180 00006414
	ds_write_b64 v20, v[104:105] offset:8704                   // 00000000C30C: D89A2200 00006814
	ds_write_b64 v20, v[108:109] offset:26112                  // 00000000C314: D89A6600 00006C14
	ds_write_b64 v20, v[112:113] offset:43520                  // 00000000C31C: D89AAA00 00007014
	ds_write_b64 v20, v[116:117] offset:10880                  // 00000000C324: D89A2A80 00007414
	ds_write_b64 v20, v[120:121] offset:28288                  // 00000000C32C: D89A6E80 00007814
	ds_write_b64 v20, v[124:125] offset:45696                  // 00000000C334: D89AB280 00007C14
	ds_write_b64 v20, v[128:129] offset:13056                  // 00000000C33C: D89A3300 00008014
	ds_write_b64 v20, v[132:133] offset:30464                  // 00000000C344: D89A7700 00008414
	ds_write_b64 v20, v[136:137] offset:47872                  // 00000000C34C: D89ABB00 00008814
	ds_write_b64 v20, v[140:141] offset:15232                  // 00000000C354: D89A3B80 00008C14
	ds_write_b64 v20, v[144:145] offset:32640                  // 00000000C35C: D89A7F80 00009014
	ds_write_b64 v20, v[148:149] offset:50048                  // 00000000C364: D89AC380 00009414
	v_lshrrev_b32_e32 v4, 5, v0                                // 00000000C36C: 20080085
	v_xor_b32_e32 v5, 1, v4                                    // 00000000C370: 2A0A0881
	s_mul_i32 s60, s65, 1                                      // 00000000C374: 923C8141
	s_cmp_eq_u32 s88, 0                                        // 00000000C378: BF068058
	s_cselect_b32 s61, 1, 8                                    // 00000000C37C: 853D8881
	s_mul_i32 s60, s61, s60                                    // 00000000C380: 923C3C3D
	v_readlane_b32 s82, v3, 0                                  // 00000000C384: D2890052 00010103
	s_lshr_b32 s61, s82, 24                                    // 00000000C38C: 8F3D9852
	s_and_b32 s82, s82, 0xffffff                               // 00000000C390: 8652FF52 00FFFFFF
	s_mul_i32 s82, s82, s71                                    // 00000000C398: 92524752
	s_mul_i32 s61, s60, s61                                    // 00000000C39C: 923D3D3C
	s_add_u32 s82, s82, s61                                    // 00000000C3A0: 80523D52
	v_mul_lo_u32 v6, v5, s82                                   // 00000000C3A4: D2850006 0000A505
	v_readlane_b32 s82, v3, 1                                  // 00000000C3AC: D2890052 00010303
	s_lshr_b32 s61, s82, 24                                    // 00000000C3B4: 8F3D9852
	s_and_b32 s82, s82, 0xffffff                               // 00000000C3B8: 8652FF52 00FFFFFF
	s_mul_i32 s82, s82, s71                                    // 00000000C3C0: 92524752
	s_mul_i32 s61, s60, s61                                    // 00000000C3C4: 923D3D3C
	s_add_u32 s82, s82, s61                                    // 00000000C3C8: 80523D52
	v_mul_lo_u32 v7, v4, s82                                   // 00000000C3CC: D2850007 0000A504
	v_add_u32_e32 v42, v6, v7                                  // 00000000C3D4: 68540F06
	v_readlane_b32 s82, v3, 2                                  // 00000000C3D8: D2890052 00010503
	s_lshr_b32 s61, s82, 24                                    // 00000000C3E0: 8F3D9852
	s_and_b32 s82, s82, 0xffffff                               // 00000000C3E4: 8652FF52 00FFFFFF
	s_mul_i32 s82, s82, s71                                    // 00000000C3EC: 92524752
	s_mul_i32 s61, s60, s61                                    // 00000000C3F0: 923D3D3C
	s_add_u32 s82, s82, s61                                    // 00000000C3F4: 80523D52
	v_mul_lo_u32 v6, v5, s82                                   // 00000000C3F8: D2850006 0000A505
	v_readlane_b32 s82, v3, 3                                  // 00000000C400: D2890052 00010703
	s_lshr_b32 s61, s82, 24                                    // 00000000C408: 8F3D9852
	s_and_b32 s82, s82, 0xffffff                               // 00000000C40C: 8652FF52 00FFFFFF
	s_mul_i32 s82, s82, s71                                    // 00000000C414: 92524752
	s_mul_i32 s61, s60, s61                                    // 00000000C418: 923D3D3C
	s_add_u32 s82, s82, s61                                    // 00000000C41C: 80523D52
	v_mul_lo_u32 v7, v4, s82                                   // 00000000C420: D2850007 0000A504
	v_add_u32_e32 v43, v6, v7                                  // 00000000C428: 68560F06
	v_readlane_b32 s82, v3, 4                                  // 00000000C42C: D2890052 00010903
	s_lshr_b32 s61, s82, 24                                    // 00000000C434: 8F3D9852
	s_and_b32 s82, s82, 0xffffff                               // 00000000C438: 8652FF52 00FFFFFF
	s_mul_i32 s82, s82, s71                                    // 00000000C440: 92524752
	s_mul_i32 s61, s60, s61                                    // 00000000C444: 923D3D3C
	s_add_u32 s82, s82, s61                                    // 00000000C448: 80523D52
	v_mul_lo_u32 v6, v5, s82                                   // 00000000C44C: D2850006 0000A505
	v_readlane_b32 s82, v3, 5                                  // 00000000C454: D2890052 00010B03
	s_lshr_b32 s61, s82, 24                                    // 00000000C45C: 8F3D9852
	s_and_b32 s82, s82, 0xffffff                               // 00000000C460: 8652FF52 00FFFFFF
	s_mul_i32 s82, s82, s71                                    // 00000000C468: 92524752
	s_mul_i32 s61, s60, s61                                    // 00000000C46C: 923D3D3C
	s_add_u32 s82, s82, s61                                    // 00000000C470: 80523D52
	v_mul_lo_u32 v7, v4, s82                                   // 00000000C474: D2850007 0000A504
	v_add_u32_e32 v44, v6, v7                                  // 00000000C47C: 68580F06
	v_readlane_b32 s82, v3, 6                                  // 00000000C480: D2890052 00010D03
	s_lshr_b32 s61, s82, 24                                    // 00000000C488: 8F3D9852
	s_and_b32 s82, s82, 0xffffff                               // 00000000C48C: 8652FF52 00FFFFFF
	s_mul_i32 s82, s82, s71                                    // 00000000C494: 92524752
	s_mul_i32 s61, s60, s61                                    // 00000000C498: 923D3D3C
	s_add_u32 s82, s82, s61                                    // 00000000C49C: 80523D52
	v_mul_lo_u32 v6, v5, s82                                   // 00000000C4A0: D2850006 0000A505
	v_readlane_b32 s82, v3, 7                                  // 00000000C4A8: D2890052 00010F03
	s_lshr_b32 s61, s82, 24                                    // 00000000C4B0: 8F3D9852
	s_and_b32 s82, s82, 0xffffff                               // 00000000C4B4: 8652FF52 00FFFFFF
	s_mul_i32 s82, s82, s71                                    // 00000000C4BC: 92524752
	s_mul_i32 s61, s60, s61                                    // 00000000C4C0: 923D3D3C
	s_add_u32 s82, s82, s61                                    // 00000000C4C4: 80523D52
	v_mul_lo_u32 v7, v4, s82                                   // 00000000C4C8: D2850007 0000A504
	v_add_u32_e32 v45, v6, v7                                  // 00000000C4D0: 685A0F06
	v_readlane_b32 s82, v3, 8                                  // 00000000C4D4: D2890052 00011103
	s_lshr_b32 s61, s82, 24                                    // 00000000C4DC: 8F3D9852
	s_and_b32 s82, s82, 0xffffff                               // 00000000C4E0: 8652FF52 00FFFFFF
	s_mul_i32 s82, s82, s71                                    // 00000000C4E8: 92524752
	s_mul_i32 s61, s60, s61                                    // 00000000C4EC: 923D3D3C
	s_add_u32 s82, s82, s61                                    // 00000000C4F0: 80523D52
	v_mul_lo_u32 v6, v5, s82                                   // 00000000C4F4: D2850006 0000A505
	v_readlane_b32 s82, v3, 9                                  // 00000000C4FC: D2890052 00011303
	s_lshr_b32 s61, s82, 24                                    // 00000000C504: 8F3D9852
	s_and_b32 s82, s82, 0xffffff                               // 00000000C508: 8652FF52 00FFFFFF
	s_mul_i32 s82, s82, s71                                    // 00000000C510: 92524752
	s_mul_i32 s61, s60, s61                                    // 00000000C514: 923D3D3C
	s_add_u32 s82, s82, s61                                    // 00000000C518: 80523D52
	v_mul_lo_u32 v7, v4, s82                                   // 00000000C51C: D2850007 0000A504
	v_add_u32_e32 v46, v6, v7                                  // 00000000C524: 685C0F06
	v_readlane_b32 s82, v3, 10                                 // 00000000C528: D2890052 00011503
	s_lshr_b32 s61, s82, 24                                    // 00000000C530: 8F3D9852
	s_and_b32 s82, s82, 0xffffff                               // 00000000C534: 8652FF52 00FFFFFF
	s_mul_i32 s82, s82, s71                                    // 00000000C53C: 92524752
	s_mul_i32 s61, s60, s61                                    // 00000000C540: 923D3D3C
	s_add_u32 s82, s82, s61                                    // 00000000C544: 80523D52
	v_mul_lo_u32 v6, v5, s82                                   // 00000000C548: D2850006 0000A505
	v_readlane_b32 s82, v3, 11                                 // 00000000C550: D2890052 00011703
	s_lshr_b32 s61, s82, 24                                    // 00000000C558: 8F3D9852
	s_and_b32 s82, s82, 0xffffff                               // 00000000C55C: 8652FF52 00FFFFFF
	s_mul_i32 s82, s82, s71                                    // 00000000C564: 92524752
	s_mul_i32 s61, s60, s61                                    // 00000000C568: 923D3D3C
	s_add_u32 s82, s82, s61                                    // 00000000C56C: 80523D52
	v_mul_lo_u32 v7, v4, s82                                   // 00000000C570: D2850007 0000A504
	v_add_u32_e32 v47, v6, v7                                  // 00000000C578: 685E0F06
	v_and_b32_e32 v4, 31, v0                                   // 00000000C57C: 2608009F
	v_lshrrev_b32_e32 v4, 1, v4                                // 00000000C580: 20080881
	s_cmp_eq_u32 s88, 0                                        // 00000000C584: BF068058
	s_cselect_b32 s61, 2, 4                                    // 00000000C588: 853D8482
	v_mul_lo_u32 v4, v4, s61                                   // 00000000C58C: D2850004 00007B04
	v_and_b32_e64 v5, v0, 1                                    // 00000000C594: D1130005 00010300
	v_add_u32_e32 v4, v4, v5                                   // 00000000C59C: 68080B04
	v_lshlrev_b32_e32 v4, 2, v4                                // 00000000C5A0: 24080882
	v_add_u32_e32 v42, v42, v4                                 // 00000000C5A4: 6854092A
	v_add_u32_e32 v43, v43, v4                                 // 00000000C5A8: 6856092B
	v_add_u32_e32 v44, v44, v4                                 // 00000000C5AC: 6858092C
	v_add_u32_e32 v45, v45, v4                                 // 00000000C5B0: 685A092D
	v_add_u32_e32 v46, v46, v4                                 // 00000000C5B4: 685C092E
	v_add_u32_e32 v47, v47, v4                                 // 00000000C5B8: 685E092F
	s_waitcnt lgkmcnt(0)                                       // 00000000C5BC: BF8CC07F
	s_barrier                                                  // 00000000C5C0: BF8A0000
	ds_read_b32 v56, v21                                       // 00000000C5C4: D86C0000 38000015
	ds_read_b32 v57, v21 offset:64                             // 00000000C5CC: D86C0040 39000015
	ds_read_b32 v60, v21 offset:2176                           // 00000000C5D4: D86C0880 3C000015
	ds_read_b32 v61, v21 offset:2240                           // 00000000C5DC: D86C08C0 3D000015
	ds_read_b32 v64, v21 offset:4352                           // 00000000C5E4: D86C1100 40000015
	ds_read_b32 v65, v21 offset:4416                           // 00000000C5EC: D86C1140 41000015
	ds_read_b32 v68, v21 offset:6528                           // 00000000C5F4: D86C1980 44000015
	ds_read_b32 v69, v21 offset:6592                           // 00000000C5FC: D86C19C0 45000015
	ds_read_b32 v72, v21 offset:8704                           // 00000000C604: D86C2200 48000015
	ds_read_b32 v73, v21 offset:8768                           // 00000000C60C: D86C2240 49000015
	ds_read_b32 v76, v21 offset:10880                          // 00000000C614: D86C2A80 4C000015
	ds_read_b32 v77, v21 offset:10944                          // 00000000C61C: D86C2AC0 4D000015
	ds_read_b32 v80, v21 offset:13056                          // 00000000C624: D86C3300 50000015
	ds_read_b32 v81, v21 offset:13120                          // 00000000C62C: D86C3340 51000015
	ds_read_b32 v84, v21 offset:15232                          // 00000000C634: D86C3B80 54000015
	ds_read_b32 v85, v21 offset:15296                          // 00000000C63C: D86C3BC0 55000015
	ds_read_b32 v88, v21 offset:17408                          // 00000000C644: D86C4400 58000015
	ds_read_b32 v89, v21 offset:17472                          // 00000000C64C: D86C4440 59000015
	ds_read_b32 v92, v21 offset:19584                          // 00000000C654: D86C4C80 5C000015
	ds_read_b32 v93, v21 offset:19648                          // 00000000C65C: D86C4CC0 5D000015
	ds_read_b32 v96, v21 offset:21760                          // 00000000C664: D86C5500 60000015
	ds_read_b32 v97, v21 offset:21824                          // 00000000C66C: D86C5540 61000015
	ds_read_b32 v100, v21 offset:23936                         // 00000000C674: D86C5D80 64000015
	ds_read_b32 v101, v21 offset:24000                         // 00000000C67C: D86C5DC0 65000015
	ds_read_b32 v104, v21 offset:26112                         // 00000000C684: D86C6600 68000015
	ds_read_b32 v105, v21 offset:26176                         // 00000000C68C: D86C6640 69000015
	ds_read_b32 v108, v21 offset:28288                         // 00000000C694: D86C6E80 6C000015
	ds_read_b32 v109, v21 offset:28352                         // 00000000C69C: D86C6EC0 6D000015
	ds_read_b32 v112, v21 offset:30464                         // 00000000C6A4: D86C7700 70000015
	ds_read_b32 v113, v21 offset:30528                         // 00000000C6AC: D86C7740 71000015
	ds_read_b32 v116, v21 offset:32640                         // 00000000C6B4: D86C7F80 74000015
	ds_read_b32 v117, v21 offset:32704                         // 00000000C6BC: D86C7FC0 75000015
	ds_read_b32 v120, v21 offset:34816                         // 00000000C6C4: D86C8800 78000015
	ds_read_b32 v121, v21 offset:34880                         // 00000000C6CC: D86C8840 79000015
	ds_read_b32 v124, v21 offset:36992                         // 00000000C6D4: D86C9080 7C000015
	ds_read_b32 v125, v21 offset:37056                         // 00000000C6DC: D86C90C0 7D000015
	ds_read_b32 v128, v21 offset:39168                         // 00000000C6E4: D86C9900 80000015
	ds_read_b32 v129, v21 offset:39232                         // 00000000C6EC: D86C9940 81000015
	ds_read_b32 v132, v21 offset:41344                         // 00000000C6F4: D86CA180 84000015
	ds_read_b32 v133, v21 offset:41408                         // 00000000C6FC: D86CA1C0 85000015
	ds_read_b32 v136, v21 offset:43520                         // 00000000C704: D86CAA00 88000015
	ds_read_b32 v137, v21 offset:43584                         // 00000000C70C: D86CAA40 89000015
	ds_read_b32 v140, v21 offset:45696                         // 00000000C714: D86CB280 8C000015
	ds_read_b32 v141, v21 offset:45760                         // 00000000C71C: D86CB2C0 8D000015
	ds_read_b32 v144, v21 offset:47872                         // 00000000C724: D86CBB00 90000015
	ds_read_b32 v145, v21 offset:47936                         // 00000000C72C: D86CBB40 91000015
	ds_read_b32 v148, v21 offset:50048                         // 00000000C734: D86CC380 94000015
	ds_read_b32 v149, v21 offset:50112                         // 00000000C73C: D86CC3C0 95000015
	s_waitcnt lgkmcnt(0)                                       // 00000000C744: BF8CC07F
	s_mov_b32 s36, -1                                          // 00000000C748: BEA400C1
	s_mov_b32 s37, -1                                          // 00000000C74C: BEA500C1
	v_mov_b32_e32 v7, 0                                        // 00000000C750: 7E0E0280
	s_mov_b64 exec, s[36:37]                                   // 00000000C754: BEFE0124
	v_mov_b32_e32 v6, v42                                      // 00000000C758: 7E0C032A
	s_mov_b64 s[60:61], 0                                      // 00000000C75C: BEBC0180
	v_readlane_b32 s82, v3, 0                                  // 00000000C760: D2890052 00010103
	s_and_b32 s82, s82, 0xffffff                               // 00000000C768: 8652FF52 00FFFFFF
	s_cmp_lt_u32 s82, s66                                      // 00000000C770: BF0A4252
	s_cselect_b32 s20, s36, s60                                // 00000000C774: 85143C24
	v_readlane_b32 s82, v3, 1                                  // 00000000C778: D2890052 00010303
	s_and_b32 s82, s82, 0xffffff                               // 00000000C780: 8652FF52 00FFFFFF
	s_cmp_lt_u32 s82, s66                                      // 00000000C788: BF0A4252
	s_cselect_b32 s21, s36, s60                                // 00000000C78C: 85153C24
	s_mov_b64 exec, s[20:21]                                   // 00000000C790: BEFE0114
	global_atomic_add_f32 v6, v56, s[8:9]                      // 00000000C794: DD348000 00083806
	global_atomic_add_f32 v6, v60, s[8:9] offset:256           // 00000000C79C: DD348100 00083C06
	global_atomic_add_f32 v6, v64, s[8:9] offset:512           // 00000000C7A4: DD348200 00084006
	global_atomic_add_f32 v6, v68, s[8:9] offset:768           // 00000000C7AC: DD348300 00084406
	global_atomic_add_f32 v6, v72, s[8:9] offset:1024          // 00000000C7B4: DD348400 00084806
	global_atomic_add_f32 v6, v76, s[8:9] offset:1280          // 00000000C7BC: DD348500 00084C06
	global_atomic_add_f32 v6, v80, s[8:9] offset:1536          // 00000000C7C4: DD348600 00085006
	global_atomic_add_f32 v6, v84, s[8:9] offset:1792          // 00000000C7CC: DD348700 00085406
	s_mov_b64 exec, s[36:37]                                   // 00000000C7D4: BEFE0124
	v_mov_b32_e32 v6, v43                                      // 00000000C7D8: 7E0C032B
	s_mov_b64 s[60:61], 0                                      // 00000000C7DC: BEBC0180
	v_readlane_b32 s82, v3, 2                                  // 00000000C7E0: D2890052 00010503
	s_and_b32 s82, s82, 0xffffff                               // 00000000C7E8: 8652FF52 00FFFFFF
	s_cmp_lt_u32 s82, s66                                      // 00000000C7F0: BF0A4252
	s_cselect_b32 s20, s36, s60                                // 00000000C7F4: 85143C24
	v_readlane_b32 s82, v3, 3                                  // 00000000C7F8: D2890052 00010703
	s_and_b32 s82, s82, 0xffffff                               // 00000000C800: 8652FF52 00FFFFFF
	s_cmp_lt_u32 s82, s66                                      // 00000000C808: BF0A4252
	s_cselect_b32 s21, s36, s60                                // 00000000C80C: 85153C24
	s_mov_b64 exec, s[20:21]                                   // 00000000C810: BEFE0114
	global_atomic_add_f32 v6, v57, s[8:9]                      // 00000000C814: DD348000 00083906
	global_atomic_add_f32 v6, v61, s[8:9] offset:256           // 00000000C81C: DD348100 00083D06
	global_atomic_add_f32 v6, v65, s[8:9] offset:512           // 00000000C824: DD348200 00084106
	global_atomic_add_f32 v6, v69, s[8:9] offset:768           // 00000000C82C: DD348300 00084506
	global_atomic_add_f32 v6, v73, s[8:9] offset:1024          // 00000000C834: DD348400 00084906
	global_atomic_add_f32 v6, v77, s[8:9] offset:1280          // 00000000C83C: DD348500 00084D06
	global_atomic_add_f32 v6, v81, s[8:9] offset:1536          // 00000000C844: DD348600 00085106
	global_atomic_add_f32 v6, v85, s[8:9] offset:1792          // 00000000C84C: DD348700 00085506
	s_mov_b64 exec, s[36:37]                                   // 00000000C854: BEFE0124
	v_mov_b32_e32 v6, v44                                      // 00000000C858: 7E0C032C
	s_mov_b64 s[60:61], 0                                      // 00000000C85C: BEBC0180
	v_readlane_b32 s82, v3, 4                                  // 00000000C860: D2890052 00010903
	s_and_b32 s82, s82, 0xffffff                               // 00000000C868: 8652FF52 00FFFFFF
	s_cmp_lt_u32 s82, s66                                      // 00000000C870: BF0A4252
	s_cselect_b32 s20, s36, s60                                // 00000000C874: 85143C24
	v_readlane_b32 s82, v3, 5                                  // 00000000C878: D2890052 00010B03
	s_and_b32 s82, s82, 0xffffff                               // 00000000C880: 8652FF52 00FFFFFF
	s_cmp_lt_u32 s82, s66                                      // 00000000C888: BF0A4252
	s_cselect_b32 s21, s36, s60                                // 00000000C88C: 85153C24
	s_mov_b64 exec, s[20:21]                                   // 00000000C890: BEFE0114
	global_atomic_add_f32 v6, v88, s[8:9]                      // 00000000C894: DD348000 00085806
	global_atomic_add_f32 v6, v92, s[8:9] offset:256           // 00000000C89C: DD348100 00085C06
	global_atomic_add_f32 v6, v96, s[8:9] offset:512           // 00000000C8A4: DD348200 00086006
	global_atomic_add_f32 v6, v100, s[8:9] offset:768          // 00000000C8AC: DD348300 00086406
	global_atomic_add_f32 v6, v104, s[8:9] offset:1024         // 00000000C8B4: DD348400 00086806
	global_atomic_add_f32 v6, v108, s[8:9] offset:1280         // 00000000C8BC: DD348500 00086C06
	global_atomic_add_f32 v6, v112, s[8:9] offset:1536         // 00000000C8C4: DD348600 00087006
	global_atomic_add_f32 v6, v116, s[8:9] offset:1792         // 00000000C8CC: DD348700 00087406
	s_mov_b64 exec, s[36:37]                                   // 00000000C8D4: BEFE0124
	v_mov_b32_e32 v6, v45                                      // 00000000C8D8: 7E0C032D
	s_mov_b64 s[60:61], 0                                      // 00000000C8DC: BEBC0180
	v_readlane_b32 s82, v3, 6                                  // 00000000C8E0: D2890052 00010D03
	s_and_b32 s82, s82, 0xffffff                               // 00000000C8E8: 8652FF52 00FFFFFF
	s_cmp_lt_u32 s82, s66                                      // 00000000C8F0: BF0A4252
	s_cselect_b32 s20, s36, s60                                // 00000000C8F4: 85143C24
	v_readlane_b32 s82, v3, 7                                  // 00000000C8F8: D2890052 00010F03
	s_and_b32 s82, s82, 0xffffff                               // 00000000C900: 8652FF52 00FFFFFF
	s_cmp_lt_u32 s82, s66                                      // 00000000C908: BF0A4252
	s_cselect_b32 s21, s36, s60                                // 00000000C90C: 85153C24
	s_mov_b64 exec, s[20:21]                                   // 00000000C910: BEFE0114
	global_atomic_add_f32 v6, v89, s[8:9]                      // 00000000C914: DD348000 00085906
	global_atomic_add_f32 v6, v93, s[8:9] offset:256           // 00000000C91C: DD348100 00085D06
	global_atomic_add_f32 v6, v97, s[8:9] offset:512           // 00000000C924: DD348200 00086106
	global_atomic_add_f32 v6, v101, s[8:9] offset:768          // 00000000C92C: DD348300 00086506
	global_atomic_add_f32 v6, v105, s[8:9] offset:1024         // 00000000C934: DD348400 00086906
	global_atomic_add_f32 v6, v109, s[8:9] offset:1280         // 00000000C93C: DD348500 00086D06
	global_atomic_add_f32 v6, v113, s[8:9] offset:1536         // 00000000C944: DD348600 00087106
	global_atomic_add_f32 v6, v117, s[8:9] offset:1792         // 00000000C94C: DD348700 00087506
	s_mov_b64 exec, s[36:37]                                   // 00000000C954: BEFE0124
	v_mov_b32_e32 v6, v46                                      // 00000000C958: 7E0C032E
	s_mov_b64 s[60:61], 0                                      // 00000000C95C: BEBC0180
	v_readlane_b32 s82, v3, 8                                  // 00000000C960: D2890052 00011103
	s_and_b32 s82, s82, 0xffffff                               // 00000000C968: 8652FF52 00FFFFFF
	s_cmp_lt_u32 s82, s66                                      // 00000000C970: BF0A4252
	s_cselect_b32 s20, s36, s60                                // 00000000C974: 85143C24
	v_readlane_b32 s82, v3, 9                                  // 00000000C978: D2890052 00011303
	s_and_b32 s82, s82, 0xffffff                               // 00000000C980: 8652FF52 00FFFFFF
	s_cmp_lt_u32 s82, s66                                      // 00000000C988: BF0A4252
	s_cselect_b32 s21, s36, s60                                // 00000000C98C: 85153C24
	s_mov_b64 exec, s[20:21]                                   // 00000000C990: BEFE0114
	global_atomic_add_f32 v6, v120, s[8:9]                     // 00000000C994: DD348000 00087806
	global_atomic_add_f32 v6, v124, s[8:9] offset:256          // 00000000C99C: DD348100 00087C06
	global_atomic_add_f32 v6, v128, s[8:9] offset:512          // 00000000C9A4: DD348200 00088006
	global_atomic_add_f32 v6, v132, s[8:9] offset:768          // 00000000C9AC: DD348300 00088406
	global_atomic_add_f32 v6, v136, s[8:9] offset:1024         // 00000000C9B4: DD348400 00088806
	global_atomic_add_f32 v6, v140, s[8:9] offset:1280         // 00000000C9BC: DD348500 00088C06
	global_atomic_add_f32 v6, v144, s[8:9] offset:1536         // 00000000C9C4: DD348600 00089006
	global_atomic_add_f32 v6, v148, s[8:9] offset:1792         // 00000000C9CC: DD348700 00089406
	s_mov_b64 exec, s[36:37]                                   // 00000000C9D4: BEFE0124
	v_mov_b32_e32 v6, v47                                      // 00000000C9D8: 7E0C032F
	s_mov_b64 s[60:61], 0                                      // 00000000C9DC: BEBC0180
	v_readlane_b32 s82, v3, 10                                 // 00000000C9E0: D2890052 00011503
	s_and_b32 s82, s82, 0xffffff                               // 00000000C9E8: 8652FF52 00FFFFFF
	s_cmp_lt_u32 s82, s66                                      // 00000000C9F0: BF0A4252
	s_cselect_b32 s20, s36, s60                                // 00000000C9F4: 85143C24
	v_readlane_b32 s82, v3, 11                                 // 00000000C9F8: D2890052 00011703
	s_and_b32 s82, s82, 0xffffff                               // 00000000CA00: 8652FF52 00FFFFFF
	s_cmp_lt_u32 s82, s66                                      // 00000000CA08: BF0A4252
	s_cselect_b32 s21, s36, s60                                // 00000000CA0C: 85153C24
	s_mov_b64 exec, s[20:21]                                   // 00000000CA10: BEFE0114
	global_atomic_add_f32 v6, v121, s[8:9]                     // 00000000CA14: DD348000 00087906
	global_atomic_add_f32 v6, v125, s[8:9] offset:256          // 00000000CA1C: DD348100 00087D06
	global_atomic_add_f32 v6, v129, s[8:9] offset:512          // 00000000CA24: DD348200 00088106
	global_atomic_add_f32 v6, v133, s[8:9] offset:768          // 00000000CA2C: DD348300 00088506
	global_atomic_add_f32 v6, v137, s[8:9] offset:1024         // 00000000CA34: DD348400 00088906
	global_atomic_add_f32 v6, v141, s[8:9] offset:1280         // 00000000CA3C: DD348500 00088D06
	global_atomic_add_f32 v6, v145, s[8:9] offset:1536         // 00000000CA44: DD348600 00089106
	global_atomic_add_f32 v6, v149, s[8:9] offset:1792         // 00000000CA4C: DD348700 00089506
	s_mov_b64 exec, s[36:37]                                   // 00000000CA54: BEFE0124
	ds_write_b64 v20, v[58:59]                                 // 00000000CA58: D89A0000 00003A14
	ds_write_b64 v20, v[62:63] offset:17408                    // 00000000CA60: D89A4400 00003E14
	ds_write_b64 v20, v[66:67] offset:34816                    // 00000000CA68: D89A8800 00004214
	ds_write_b64 v20, v[70:71] offset:2176                     // 00000000CA70: D89A0880 00004614
	ds_write_b64 v20, v[74:75] offset:19584                    // 00000000CA78: D89A4C80 00004A14
	ds_write_b64 v20, v[78:79] offset:36992                    // 00000000CA80: D89A9080 00004E14
	ds_write_b64 v20, v[82:83] offset:4352                     // 00000000CA88: D89A1100 00005214
	ds_write_b64 v20, v[86:87] offset:21760                    // 00000000CA90: D89A5500 00005614
	ds_write_b64 v20, v[90:91] offset:39168                    // 00000000CA98: D89A9900 00005A14
	ds_write_b64 v20, v[94:95] offset:6528                     // 00000000CAA0: D89A1980 00005E14
	ds_write_b64 v20, v[98:99] offset:23936                    // 00000000CAA8: D89A5D80 00006214
	ds_write_b64 v20, v[102:103] offset:41344                  // 00000000CAB0: D89AA180 00006614
	ds_write_b64 v20, v[106:107] offset:8704                   // 00000000CAB8: D89A2200 00006A14
	ds_write_b64 v20, v[110:111] offset:26112                  // 00000000CAC0: D89A6600 00006E14
	ds_write_b64 v20, v[114:115] offset:43520                  // 00000000CAC8: D89AAA00 00007214
	ds_write_b64 v20, v[118:119] offset:10880                  // 00000000CAD0: D89A2A80 00007614
	ds_write_b64 v20, v[122:123] offset:28288                  // 00000000CAD8: D89A6E80 00007A14
	ds_write_b64 v20, v[126:127] offset:45696                  // 00000000CAE0: D89AB280 00007E14
	ds_write_b64 v20, v[130:131] offset:13056                  // 00000000CAE8: D89A3300 00008214
	ds_write_b64 v20, v[134:135] offset:30464                  // 00000000CAF0: D89A7700 00008614
	ds_write_b64 v20, v[138:139] offset:47872                  // 00000000CAF8: D89ABB00 00008A14
	ds_write_b64 v20, v[142:143] offset:15232                  // 00000000CB00: D89A3B80 00008E14
	ds_write_b64 v20, v[146:147] offset:32640                  // 00000000CB08: D89A7F80 00009214
	ds_write_b64 v20, v[150:151] offset:50048                  // 00000000CB10: D89AC380 00009614
	s_waitcnt lgkmcnt(0)                                       // 00000000CB18: BF8CC07F
	s_barrier                                                  // 00000000CB1C: BF8A0000
	ds_read_b32 v58, v21                                       // 00000000CB20: D86C0000 3A000015
	ds_read_b32 v59, v21 offset:64                             // 00000000CB28: D86C0040 3B000015
	ds_read_b32 v62, v21 offset:2176                           // 00000000CB30: D86C0880 3E000015
	ds_read_b32 v63, v21 offset:2240                           // 00000000CB38: D86C08C0 3F000015
	ds_read_b32 v66, v21 offset:4352                           // 00000000CB40: D86C1100 42000015
	ds_read_b32 v67, v21 offset:4416                           // 00000000CB48: D86C1140 43000015
	ds_read_b32 v70, v21 offset:6528                           // 00000000CB50: D86C1980 46000015
	ds_read_b32 v71, v21 offset:6592                           // 00000000CB58: D86C19C0 47000015
	ds_read_b32 v74, v21 offset:8704                           // 00000000CB60: D86C2200 4A000015
	ds_read_b32 v75, v21 offset:8768                           // 00000000CB68: D86C2240 4B000015
	ds_read_b32 v78, v21 offset:10880                          // 00000000CB70: D86C2A80 4E000015
	ds_read_b32 v79, v21 offset:10944                          // 00000000CB78: D86C2AC0 4F000015
	ds_read_b32 v82, v21 offset:13056                          // 00000000CB80: D86C3300 52000015
	ds_read_b32 v83, v21 offset:13120                          // 00000000CB88: D86C3340 53000015
	ds_read_b32 v86, v21 offset:15232                          // 00000000CB90: D86C3B80 56000015
	ds_read_b32 v87, v21 offset:15296                          // 00000000CB98: D86C3BC0 57000015
	ds_read_b32 v90, v21 offset:17408                          // 00000000CBA0: D86C4400 5A000015
	ds_read_b32 v91, v21 offset:17472                          // 00000000CBA8: D86C4440 5B000015
	ds_read_b32 v94, v21 offset:19584                          // 00000000CBB0: D86C4C80 5E000015
	ds_read_b32 v95, v21 offset:19648                          // 00000000CBB8: D86C4CC0 5F000015
	ds_read_b32 v98, v21 offset:21760                          // 00000000CBC0: D86C5500 62000015
	ds_read_b32 v99, v21 offset:21824                          // 00000000CBC8: D86C5540 63000015
	ds_read_b32 v102, v21 offset:23936                         // 00000000CBD0: D86C5D80 66000015
	ds_read_b32 v103, v21 offset:24000                         // 00000000CBD8: D86C5DC0 67000015
	ds_read_b32 v106, v21 offset:26112                         // 00000000CBE0: D86C6600 6A000015
	ds_read_b32 v107, v21 offset:26176                         // 00000000CBE8: D86C6640 6B000015
	ds_read_b32 v110, v21 offset:28288                         // 00000000CBF0: D86C6E80 6E000015
	ds_read_b32 v111, v21 offset:28352                         // 00000000CBF8: D86C6EC0 6F000015
	ds_read_b32 v114, v21 offset:30464                         // 00000000CC00: D86C7700 72000015
	ds_read_b32 v115, v21 offset:30528                         // 00000000CC08: D86C7740 73000015
	ds_read_b32 v118, v21 offset:32640                         // 00000000CC10: D86C7F80 76000015
	ds_read_b32 v119, v21 offset:32704                         // 00000000CC18: D86C7FC0 77000015
	ds_read_b32 v122, v21 offset:34816                         // 00000000CC20: D86C8800 7A000015
	ds_read_b32 v123, v21 offset:34880                         // 00000000CC28: D86C8840 7B000015
	ds_read_b32 v126, v21 offset:36992                         // 00000000CC30: D86C9080 7E000015
	ds_read_b32 v127, v21 offset:37056                         // 00000000CC38: D86C90C0 7F000015
	ds_read_b32 v130, v21 offset:39168                         // 00000000CC40: D86C9900 82000015
	ds_read_b32 v131, v21 offset:39232                         // 00000000CC48: D86C9940 83000015
	ds_read_b32 v134, v21 offset:41344                         // 00000000CC50: D86CA180 86000015
	ds_read_b32 v135, v21 offset:41408                         // 00000000CC58: D86CA1C0 87000015
	ds_read_b32 v138, v21 offset:43520                         // 00000000CC60: D86CAA00 8A000015
	ds_read_b32 v139, v21 offset:43584                         // 00000000CC68: D86CAA40 8B000015
	ds_read_b32 v142, v21 offset:45696                         // 00000000CC70: D86CB280 8E000015
	ds_read_b32 v143, v21 offset:45760                         // 00000000CC78: D86CB2C0 8F000015
	ds_read_b32 v146, v21 offset:47872                         // 00000000CC80: D86CBB00 92000015
	ds_read_b32 v147, v21 offset:47936                         // 00000000CC88: D86CBB40 93000015
	ds_read_b32 v150, v21 offset:50048                         // 00000000CC90: D86CC380 96000015
	ds_read_b32 v151, v21 offset:50112                         // 00000000CC98: D86CC3C0 97000015
	s_waitcnt lgkmcnt(0)                                       // 00000000CCA0: BF8CC07F
	v_mov_b32_e32 v7, 0                                        // 00000000CCA4: 7E0E0280
	s_mov_b64 exec, s[36:37]                                   // 00000000CCA8: BEFE0124
	v_mov_b32_e32 v6, v42                                      // 00000000CCAC: 7E0C032A
	s_mov_b64 s[60:61], 0                                      // 00000000CCB0: BEBC0180
	v_readlane_b32 s82, v3, 0                                  // 00000000CCB4: D2890052 00010103
	s_and_b32 s82, s82, 0xffffff                               // 00000000CCBC: 8652FF52 00FFFFFF
	s_cmp_lt_u32 s82, s66                                      // 00000000CCC4: BF0A4252
	s_cselect_b32 s20, s36, s60                                // 00000000CCC8: 85143C24
	v_readlane_b32 s82, v3, 1                                  // 00000000CCCC: D2890052 00010303
	s_and_b32 s82, s82, 0xffffff                               // 00000000CCD4: 8652FF52 00FFFFFF
	s_cmp_lt_u32 s82, s66                                      // 00000000CCDC: BF0A4252
	s_cselect_b32 s21, s36, s60                                // 00000000CCE0: 85153C24
	s_mov_b64 exec, s[20:21]                                   // 00000000CCE4: BEFE0114
	global_atomic_add_f32 v6, v58, s[8:9] offset:8             // 00000000CCE8: DD348008 00083A06
	global_atomic_add_f32 v6, v62, s[8:9] offset:264           // 00000000CCF0: DD348108 00083E06
	global_atomic_add_f32 v6, v66, s[8:9] offset:520           // 00000000CCF8: DD348208 00084206
	global_atomic_add_f32 v6, v70, s[8:9] offset:776           // 00000000CD00: DD348308 00084606
	global_atomic_add_f32 v6, v74, s[8:9] offset:1032          // 00000000CD08: DD348408 00084A06
	global_atomic_add_f32 v6, v78, s[8:9] offset:1288          // 00000000CD10: DD348508 00084E06
	global_atomic_add_f32 v6, v82, s[8:9] offset:1544          // 00000000CD18: DD348608 00085206
	global_atomic_add_f32 v6, v86, s[8:9] offset:1800          // 00000000CD20: DD348708 00085606
	s_mov_b64 exec, s[36:37]                                   // 00000000CD28: BEFE0124
	v_mov_b32_e32 v6, v43                                      // 00000000CD2C: 7E0C032B
	s_mov_b64 s[60:61], 0                                      // 00000000CD30: BEBC0180
	v_readlane_b32 s82, v3, 2                                  // 00000000CD34: D2890052 00010503
	s_and_b32 s82, s82, 0xffffff                               // 00000000CD3C: 8652FF52 00FFFFFF
	s_cmp_lt_u32 s82, s66                                      // 00000000CD44: BF0A4252
	s_cselect_b32 s20, s36, s60                                // 00000000CD48: 85143C24
	v_readlane_b32 s82, v3, 3                                  // 00000000CD4C: D2890052 00010703
	s_and_b32 s82, s82, 0xffffff                               // 00000000CD54: 8652FF52 00FFFFFF
	s_cmp_lt_u32 s82, s66                                      // 00000000CD5C: BF0A4252
	s_cselect_b32 s21, s36, s60                                // 00000000CD60: 85153C24
	s_mov_b64 exec, s[20:21]                                   // 00000000CD64: BEFE0114
	global_atomic_add_f32 v6, v59, s[8:9] offset:8             // 00000000CD68: DD348008 00083B06
	global_atomic_add_f32 v6, v63, s[8:9] offset:264           // 00000000CD70: DD348108 00083F06
	global_atomic_add_f32 v6, v67, s[8:9] offset:520           // 00000000CD78: DD348208 00084306
	global_atomic_add_f32 v6, v71, s[8:9] offset:776           // 00000000CD80: DD348308 00084706
	global_atomic_add_f32 v6, v75, s[8:9] offset:1032          // 00000000CD88: DD348408 00084B06
	global_atomic_add_f32 v6, v79, s[8:9] offset:1288          // 00000000CD90: DD348508 00084F06
	global_atomic_add_f32 v6, v83, s[8:9] offset:1544          // 00000000CD98: DD348608 00085306
	global_atomic_add_f32 v6, v87, s[8:9] offset:1800          // 00000000CDA0: DD348708 00085706
	s_mov_b64 exec, s[36:37]                                   // 00000000CDA8: BEFE0124
	v_mov_b32_e32 v6, v44                                      // 00000000CDAC: 7E0C032C
	s_mov_b64 s[60:61], 0                                      // 00000000CDB0: BEBC0180
	v_readlane_b32 s82, v3, 4                                  // 00000000CDB4: D2890052 00010903
	s_and_b32 s82, s82, 0xffffff                               // 00000000CDBC: 8652FF52 00FFFFFF
	s_cmp_lt_u32 s82, s66                                      // 00000000CDC4: BF0A4252
	s_cselect_b32 s20, s36, s60                                // 00000000CDC8: 85143C24
	v_readlane_b32 s82, v3, 5                                  // 00000000CDCC: D2890052 00010B03
	s_and_b32 s82, s82, 0xffffff                               // 00000000CDD4: 8652FF52 00FFFFFF
	s_cmp_lt_u32 s82, s66                                      // 00000000CDDC: BF0A4252
	s_cselect_b32 s21, s36, s60                                // 00000000CDE0: 85153C24
	s_mov_b64 exec, s[20:21]                                   // 00000000CDE4: BEFE0114
	global_atomic_add_f32 v6, v90, s[8:9] offset:8             // 00000000CDE8: DD348008 00085A06
	global_atomic_add_f32 v6, v94, s[8:9] offset:264           // 00000000CDF0: DD348108 00085E06
	global_atomic_add_f32 v6, v98, s[8:9] offset:520           // 00000000CDF8: DD348208 00086206
	global_atomic_add_f32 v6, v102, s[8:9] offset:776          // 00000000CE00: DD348308 00086606
	global_atomic_add_f32 v6, v106, s[8:9] offset:1032         // 00000000CE08: DD348408 00086A06
	global_atomic_add_f32 v6, v110, s[8:9] offset:1288         // 00000000CE10: DD348508 00086E06
	global_atomic_add_f32 v6, v114, s[8:9] offset:1544         // 00000000CE18: DD348608 00087206
	global_atomic_add_f32 v6, v118, s[8:9] offset:1800         // 00000000CE20: DD348708 00087606
	s_mov_b64 exec, s[36:37]                                   // 00000000CE28: BEFE0124
	v_mov_b32_e32 v6, v45                                      // 00000000CE2C: 7E0C032D
	s_mov_b64 s[60:61], 0                                      // 00000000CE30: BEBC0180
	v_readlane_b32 s82, v3, 6                                  // 00000000CE34: D2890052 00010D03
	s_and_b32 s82, s82, 0xffffff                               // 00000000CE3C: 8652FF52 00FFFFFF
	s_cmp_lt_u32 s82, s66                                      // 00000000CE44: BF0A4252
	s_cselect_b32 s20, s36, s60                                // 00000000CE48: 85143C24
	v_readlane_b32 s82, v3, 7                                  // 00000000CE4C: D2890052 00010F03
	s_and_b32 s82, s82, 0xffffff                               // 00000000CE54: 8652FF52 00FFFFFF
	s_cmp_lt_u32 s82, s66                                      // 00000000CE5C: BF0A4252
	s_cselect_b32 s21, s36, s60                                // 00000000CE60: 85153C24
	s_mov_b64 exec, s[20:21]                                   // 00000000CE64: BEFE0114
	global_atomic_add_f32 v6, v91, s[8:9] offset:8             // 00000000CE68: DD348008 00085B06
	global_atomic_add_f32 v6, v95, s[8:9] offset:264           // 00000000CE70: DD348108 00085F06
	global_atomic_add_f32 v6, v99, s[8:9] offset:520           // 00000000CE78: DD348208 00086306
	global_atomic_add_f32 v6, v103, s[8:9] offset:776          // 00000000CE80: DD348308 00086706
	global_atomic_add_f32 v6, v107, s[8:9] offset:1032         // 00000000CE88: DD348408 00086B06
	global_atomic_add_f32 v6, v111, s[8:9] offset:1288         // 00000000CE90: DD348508 00086F06
	global_atomic_add_f32 v6, v115, s[8:9] offset:1544         // 00000000CE98: DD348608 00087306
	global_atomic_add_f32 v6, v119, s[8:9] offset:1800         // 00000000CEA0: DD348708 00087706
	s_mov_b64 exec, s[36:37]                                   // 00000000CEA8: BEFE0124
	v_mov_b32_e32 v6, v46                                      // 00000000CEAC: 7E0C032E
	s_mov_b64 s[60:61], 0                                      // 00000000CEB0: BEBC0180
	v_readlane_b32 s82, v3, 8                                  // 00000000CEB4: D2890052 00011103
	s_and_b32 s82, s82, 0xffffff                               // 00000000CEBC: 8652FF52 00FFFFFF
	s_cmp_lt_u32 s82, s66                                      // 00000000CEC4: BF0A4252
	s_cselect_b32 s20, s36, s60                                // 00000000CEC8: 85143C24
	v_readlane_b32 s82, v3, 9                                  // 00000000CECC: D2890052 00011303
	s_and_b32 s82, s82, 0xffffff                               // 00000000CED4: 8652FF52 00FFFFFF
	s_cmp_lt_u32 s82, s66                                      // 00000000CEDC: BF0A4252
	s_cselect_b32 s21, s36, s60                                // 00000000CEE0: 85153C24
	s_mov_b64 exec, s[20:21]                                   // 00000000CEE4: BEFE0114
	global_atomic_add_f32 v6, v122, s[8:9] offset:8            // 00000000CEE8: DD348008 00087A06
	global_atomic_add_f32 v6, v126, s[8:9] offset:264          // 00000000CEF0: DD348108 00087E06
	global_atomic_add_f32 v6, v130, s[8:9] offset:520          // 00000000CEF8: DD348208 00088206
	global_atomic_add_f32 v6, v134, s[8:9] offset:776          // 00000000CF00: DD348308 00088606
	global_atomic_add_f32 v6, v138, s[8:9] offset:1032         // 00000000CF08: DD348408 00088A06
	global_atomic_add_f32 v6, v142, s[8:9] offset:1288         // 00000000CF10: DD348508 00088E06
	global_atomic_add_f32 v6, v146, s[8:9] offset:1544         // 00000000CF18: DD348608 00089206
	global_atomic_add_f32 v6, v150, s[8:9] offset:1800         // 00000000CF20: DD348708 00089606
	s_mov_b64 exec, s[36:37]                                   // 00000000CF28: BEFE0124
	v_mov_b32_e32 v6, v47                                      // 00000000CF2C: 7E0C032F
	s_mov_b64 s[60:61], 0                                      // 00000000CF30: BEBC0180
	v_readlane_b32 s82, v3, 10                                 // 00000000CF34: D2890052 00011503
	s_and_b32 s82, s82, 0xffffff                               // 00000000CF3C: 8652FF52 00FFFFFF
	s_cmp_lt_u32 s82, s66                                      // 00000000CF44: BF0A4252
	s_cselect_b32 s20, s36, s60                                // 00000000CF48: 85143C24
	v_readlane_b32 s82, v3, 11                                 // 00000000CF4C: D2890052 00011703
	s_and_b32 s82, s82, 0xffffff                               // 00000000CF54: 8652FF52 00FFFFFF
	s_cmp_lt_u32 s82, s66                                      // 00000000CF5C: BF0A4252
	s_cselect_b32 s21, s36, s60                                // 00000000CF60: 85153C24
	s_mov_b64 exec, s[20:21]                                   // 00000000CF64: BEFE0114
	global_atomic_add_f32 v6, v123, s[8:9] offset:8            // 00000000CF68: DD348008 00087B06
	global_atomic_add_f32 v6, v127, s[8:9] offset:264          // 00000000CF70: DD348108 00087F06
	global_atomic_add_f32 v6, v131, s[8:9] offset:520          // 00000000CF78: DD348208 00088306
	global_atomic_add_f32 v6, v135, s[8:9] offset:776          // 00000000CF80: DD348308 00088706
	global_atomic_add_f32 v6, v139, s[8:9] offset:1032         // 00000000CF88: DD348408 00088B06
	global_atomic_add_f32 v6, v143, s[8:9] offset:1288         // 00000000CF90: DD348508 00088F06
	global_atomic_add_f32 v6, v147, s[8:9] offset:1544         // 00000000CF98: DD348608 00089306
	global_atomic_add_f32 v6, v151, s[8:9] offset:1800         // 00000000CFA0: DD348708 00089706
	s_mov_b64 exec, s[36:37]                                   // 00000000CFA8: BEFE0124
	ds_write_b64 v20, v[152:153]                               // 00000000CFAC: D89A0000 00009814
	ds_write_b64 v20, v[156:157] offset:17408                  // 00000000CFB4: D89A4400 00009C14
	ds_write_b64 v20, v[160:161] offset:34816                  // 00000000CFBC: D89A8800 0000A014
	ds_write_b64 v20, v[164:165] offset:2176                   // 00000000CFC4: D89A0880 0000A414
	ds_write_b64 v20, v[168:169] offset:19584                  // 00000000CFCC: D89A4C80 0000A814
	ds_write_b64 v20, v[172:173] offset:36992                  // 00000000CFD4: D89A9080 0000AC14
	ds_write_b64 v20, v[176:177] offset:4352                   // 00000000CFDC: D89A1100 0000B014
	ds_write_b64 v20, v[180:181] offset:21760                  // 00000000CFE4: D89A5500 0000B414
	ds_write_b64 v20, v[184:185] offset:39168                  // 00000000CFEC: D89A9900 0000B814
	ds_write_b64 v20, v[188:189] offset:6528                   // 00000000CFF4: D89A1980 0000BC14
	ds_write_b64 v20, v[192:193] offset:23936                  // 00000000CFFC: D89A5D80 0000C014
	ds_write_b64 v20, v[196:197] offset:41344                  // 00000000D004: D89AA180 0000C414
	ds_write_b64 v20, v[200:201] offset:8704                   // 00000000D00C: D89A2200 0000C814
	ds_write_b64 v20, v[204:205] offset:26112                  // 00000000D014: D89A6600 0000CC14
	ds_write_b64 v20, v[208:209] offset:43520                  // 00000000D01C: D89AAA00 0000D014
	ds_write_b64 v20, v[212:213] offset:10880                  // 00000000D024: D89A2A80 0000D414
	ds_write_b64 v20, v[216:217] offset:28288                  // 00000000D02C: D89A6E80 0000D814
	ds_write_b64 v20, v[220:221] offset:45696                  // 00000000D034: D89AB280 0000DC14
	ds_write_b64 v20, v[224:225] offset:13056                  // 00000000D03C: D89A3300 0000E014
	ds_write_b64 v20, v[228:229] offset:30464                  // 00000000D044: D89A7700 0000E414
	ds_write_b64 v20, v[232:233] offset:47872                  // 00000000D04C: D89ABB00 0000E814
	ds_write_b64 v20, v[236:237] offset:15232                  // 00000000D054: D89A3B80 0000EC14
	ds_write_b64 v20, v[240:241] offset:32640                  // 00000000D05C: D89A7F80 0000F014
	ds_write_b64 v20, v[244:245] offset:50048                  // 00000000D064: D89AC380 0000F414
	s_waitcnt lgkmcnt(0)                                       // 00000000D06C: BF8CC07F
	s_barrier                                                  // 00000000D070: BF8A0000
	ds_read_b32 v152, v21                                      // 00000000D074: D86C0000 98000015
	ds_read_b32 v153, v21 offset:64                            // 00000000D07C: D86C0040 99000015
	ds_read_b32 v156, v21 offset:2176                          // 00000000D084: D86C0880 9C000015
	ds_read_b32 v157, v21 offset:2240                          // 00000000D08C: D86C08C0 9D000015
	ds_read_b32 v160, v21 offset:4352                          // 00000000D094: D86C1100 A0000015
	ds_read_b32 v161, v21 offset:4416                          // 00000000D09C: D86C1140 A1000015
	ds_read_b32 v164, v21 offset:6528                          // 00000000D0A4: D86C1980 A4000015
	ds_read_b32 v165, v21 offset:6592                          // 00000000D0AC: D86C19C0 A5000015
	ds_read_b32 v168, v21 offset:8704                          // 00000000D0B4: D86C2200 A8000015
	ds_read_b32 v169, v21 offset:8768                          // 00000000D0BC: D86C2240 A9000015
	ds_read_b32 v172, v21 offset:10880                         // 00000000D0C4: D86C2A80 AC000015
	ds_read_b32 v173, v21 offset:10944                         // 00000000D0CC: D86C2AC0 AD000015
	ds_read_b32 v176, v21 offset:13056                         // 00000000D0D4: D86C3300 B0000015
	ds_read_b32 v177, v21 offset:13120                         // 00000000D0DC: D86C3340 B1000015
	ds_read_b32 v180, v21 offset:15232                         // 00000000D0E4: D86C3B80 B4000015
	ds_read_b32 v181, v21 offset:15296                         // 00000000D0EC: D86C3BC0 B5000015
	ds_read_b32 v184, v21 offset:17408                         // 00000000D0F4: D86C4400 B8000015
	ds_read_b32 v185, v21 offset:17472                         // 00000000D0FC: D86C4440 B9000015
	ds_read_b32 v188, v21 offset:19584                         // 00000000D104: D86C4C80 BC000015
	ds_read_b32 v189, v21 offset:19648                         // 00000000D10C: D86C4CC0 BD000015
	ds_read_b32 v192, v21 offset:21760                         // 00000000D114: D86C5500 C0000015
	ds_read_b32 v193, v21 offset:21824                         // 00000000D11C: D86C5540 C1000015
	ds_read_b32 v196, v21 offset:23936                         // 00000000D124: D86C5D80 C4000015
	ds_read_b32 v197, v21 offset:24000                         // 00000000D12C: D86C5DC0 C5000015
	ds_read_b32 v200, v21 offset:26112                         // 00000000D134: D86C6600 C8000015
	ds_read_b32 v201, v21 offset:26176                         // 00000000D13C: D86C6640 C9000015
	ds_read_b32 v204, v21 offset:28288                         // 00000000D144: D86C6E80 CC000015
	ds_read_b32 v205, v21 offset:28352                         // 00000000D14C: D86C6EC0 CD000015
	ds_read_b32 v208, v21 offset:30464                         // 00000000D154: D86C7700 D0000015
	ds_read_b32 v209, v21 offset:30528                         // 00000000D15C: D86C7740 D1000015
	ds_read_b32 v212, v21 offset:32640                         // 00000000D164: D86C7F80 D4000015
	ds_read_b32 v213, v21 offset:32704                         // 00000000D16C: D86C7FC0 D5000015
	ds_read_b32 v216, v21 offset:34816                         // 00000000D174: D86C8800 D8000015
	ds_read_b32 v217, v21 offset:34880                         // 00000000D17C: D86C8840 D9000015
	ds_read_b32 v220, v21 offset:36992                         // 00000000D184: D86C9080 DC000015
	ds_read_b32 v221, v21 offset:37056                         // 00000000D18C: D86C90C0 DD000015
	ds_read_b32 v224, v21 offset:39168                         // 00000000D194: D86C9900 E0000015
	ds_read_b32 v225, v21 offset:39232                         // 00000000D19C: D86C9940 E1000015
	ds_read_b32 v228, v21 offset:41344                         // 00000000D1A4: D86CA180 E4000015
	ds_read_b32 v229, v21 offset:41408                         // 00000000D1AC: D86CA1C0 E5000015
	ds_read_b32 v232, v21 offset:43520                         // 00000000D1B4: D86CAA00 E8000015
	ds_read_b32 v233, v21 offset:43584                         // 00000000D1BC: D86CAA40 E9000015
	ds_read_b32 v236, v21 offset:45696                         // 00000000D1C4: D86CB280 EC000015
	ds_read_b32 v237, v21 offset:45760                         // 00000000D1CC: D86CB2C0 ED000015
	ds_read_b32 v240, v21 offset:47872                         // 00000000D1D4: D86CBB00 F0000015
	ds_read_b32 v241, v21 offset:47936                         // 00000000D1DC: D86CBB40 F1000015
	ds_read_b32 v244, v21 offset:50048                         // 00000000D1E4: D86CC380 F4000015
	ds_read_b32 v245, v21 offset:50112                         // 00000000D1EC: D86CC3C0 F5000015
	s_mul_i32 s60, s65, 4                                      // 00000000D1F4: 923C8441
	s_add_u32 s8, s60, s8                                      // 00000000D1F8: 8008083C
	s_addc_u32 s9, 0, s9                                       // 00000000D1FC: 82090980
	s_waitcnt lgkmcnt(0)                                       // 00000000D200: BF8CC07F
	v_mov_b32_e32 v7, 0                                        // 00000000D204: 7E0E0280
	s_mov_b64 exec, s[36:37]                                   // 00000000D208: BEFE0124
	v_mov_b32_e32 v6, v42                                      // 00000000D20C: 7E0C032A
	s_mov_b64 s[60:61], 0                                      // 00000000D210: BEBC0180
	v_readlane_b32 s82, v3, 0                                  // 00000000D214: D2890052 00010103
	s_and_b32 s82, s82, 0xffffff                               // 00000000D21C: 8652FF52 00FFFFFF
	s_cmp_lt_u32 s82, s66                                      // 00000000D224: BF0A4252
	s_cselect_b32 s20, s36, s60                                // 00000000D228: 85143C24
	v_readlane_b32 s82, v3, 1                                  // 00000000D22C: D2890052 00010303
	s_and_b32 s82, s82, 0xffffff                               // 00000000D234: 8652FF52 00FFFFFF
	s_cmp_lt_u32 s82, s66                                      // 00000000D23C: BF0A4252
	s_cselect_b32 s21, s36, s60                                // 00000000D240: 85153C24
	s_mov_b64 exec, s[20:21]                                   // 00000000D244: BEFE0114
	global_atomic_add_f32 v6, v152, s[8:9]                     // 00000000D248: DD348000 00089806
	global_atomic_add_f32 v6, v156, s[8:9] offset:256          // 00000000D250: DD348100 00089C06
	global_atomic_add_f32 v6, v160, s[8:9] offset:512          // 00000000D258: DD348200 0008A006
	global_atomic_add_f32 v6, v164, s[8:9] offset:768          // 00000000D260: DD348300 0008A406
	global_atomic_add_f32 v6, v168, s[8:9] offset:1024         // 00000000D268: DD348400 0008A806
	global_atomic_add_f32 v6, v172, s[8:9] offset:1280         // 00000000D270: DD348500 0008AC06
	global_atomic_add_f32 v6, v176, s[8:9] offset:1536         // 00000000D278: DD348600 0008B006
	global_atomic_add_f32 v6, v180, s[8:9] offset:1792         // 00000000D280: DD348700 0008B406
	s_mov_b64 exec, s[36:37]                                   // 00000000D288: BEFE0124
	v_mov_b32_e32 v6, v43                                      // 00000000D28C: 7E0C032B
	s_mov_b64 s[60:61], 0                                      // 00000000D290: BEBC0180
	v_readlane_b32 s82, v3, 2                                  // 00000000D294: D2890052 00010503
	s_and_b32 s82, s82, 0xffffff                               // 00000000D29C: 8652FF52 00FFFFFF
	s_cmp_lt_u32 s82, s66                                      // 00000000D2A4: BF0A4252
	s_cselect_b32 s20, s36, s60                                // 00000000D2A8: 85143C24
	v_readlane_b32 s82, v3, 3                                  // 00000000D2AC: D2890052 00010703
	s_and_b32 s82, s82, 0xffffff                               // 00000000D2B4: 8652FF52 00FFFFFF
	s_cmp_lt_u32 s82, s66                                      // 00000000D2BC: BF0A4252
	s_cselect_b32 s21, s36, s60                                // 00000000D2C0: 85153C24
	s_mov_b64 exec, s[20:21]                                   // 00000000D2C4: BEFE0114
	global_atomic_add_f32 v6, v153, s[8:9]                     // 00000000D2C8: DD348000 00089906
	global_atomic_add_f32 v6, v157, s[8:9] offset:256          // 00000000D2D0: DD348100 00089D06
	global_atomic_add_f32 v6, v161, s[8:9] offset:512          // 00000000D2D8: DD348200 0008A106
	global_atomic_add_f32 v6, v165, s[8:9] offset:768          // 00000000D2E0: DD348300 0008A506
	global_atomic_add_f32 v6, v169, s[8:9] offset:1024         // 00000000D2E8: DD348400 0008A906
	global_atomic_add_f32 v6, v173, s[8:9] offset:1280         // 00000000D2F0: DD348500 0008AD06
	global_atomic_add_f32 v6, v177, s[8:9] offset:1536         // 00000000D2F8: DD348600 0008B106
	global_atomic_add_f32 v6, v181, s[8:9] offset:1792         // 00000000D300: DD348700 0008B506
	s_mov_b64 exec, s[36:37]                                   // 00000000D308: BEFE0124
	v_mov_b32_e32 v6, v44                                      // 00000000D30C: 7E0C032C
	s_mov_b64 s[60:61], 0                                      // 00000000D310: BEBC0180
	v_readlane_b32 s82, v3, 4                                  // 00000000D314: D2890052 00010903
	s_and_b32 s82, s82, 0xffffff                               // 00000000D31C: 8652FF52 00FFFFFF
	s_cmp_lt_u32 s82, s66                                      // 00000000D324: BF0A4252
	s_cselect_b32 s20, s36, s60                                // 00000000D328: 85143C24
	v_readlane_b32 s82, v3, 5                                  // 00000000D32C: D2890052 00010B03
	s_and_b32 s82, s82, 0xffffff                               // 00000000D334: 8652FF52 00FFFFFF
	s_cmp_lt_u32 s82, s66                                      // 00000000D33C: BF0A4252
	s_cselect_b32 s21, s36, s60                                // 00000000D340: 85153C24
	s_mov_b64 exec, s[20:21]                                   // 00000000D344: BEFE0114
	global_atomic_add_f32 v6, v184, s[8:9]                     // 00000000D348: DD348000 0008B806
	global_atomic_add_f32 v6, v188, s[8:9] offset:256          // 00000000D350: DD348100 0008BC06
	global_atomic_add_f32 v6, v192, s[8:9] offset:512          // 00000000D358: DD348200 0008C006
	global_atomic_add_f32 v6, v196, s[8:9] offset:768          // 00000000D360: DD348300 0008C406
	global_atomic_add_f32 v6, v200, s[8:9] offset:1024         // 00000000D368: DD348400 0008C806
	global_atomic_add_f32 v6, v204, s[8:9] offset:1280         // 00000000D370: DD348500 0008CC06
	global_atomic_add_f32 v6, v208, s[8:9] offset:1536         // 00000000D378: DD348600 0008D006
	global_atomic_add_f32 v6, v212, s[8:9] offset:1792         // 00000000D380: DD348700 0008D406
	s_mov_b64 exec, s[36:37]                                   // 00000000D388: BEFE0124
	v_mov_b32_e32 v6, v45                                      // 00000000D38C: 7E0C032D
	s_mov_b64 s[60:61], 0                                      // 00000000D390: BEBC0180
	v_readlane_b32 s82, v3, 6                                  // 00000000D394: D2890052 00010D03
	s_and_b32 s82, s82, 0xffffff                               // 00000000D39C: 8652FF52 00FFFFFF
	s_cmp_lt_u32 s82, s66                                      // 00000000D3A4: BF0A4252
	s_cselect_b32 s20, s36, s60                                // 00000000D3A8: 85143C24
	v_readlane_b32 s82, v3, 7                                  // 00000000D3AC: D2890052 00010F03
	s_and_b32 s82, s82, 0xffffff                               // 00000000D3B4: 8652FF52 00FFFFFF
	s_cmp_lt_u32 s82, s66                                      // 00000000D3BC: BF0A4252
	s_cselect_b32 s21, s36, s60                                // 00000000D3C0: 85153C24
	s_mov_b64 exec, s[20:21]                                   // 00000000D3C4: BEFE0114
	global_atomic_add_f32 v6, v185, s[8:9]                     // 00000000D3C8: DD348000 0008B906
	global_atomic_add_f32 v6, v189, s[8:9] offset:256          // 00000000D3D0: DD348100 0008BD06
	global_atomic_add_f32 v6, v193, s[8:9] offset:512          // 00000000D3D8: DD348200 0008C106
	global_atomic_add_f32 v6, v197, s[8:9] offset:768          // 00000000D3E0: DD348300 0008C506
	global_atomic_add_f32 v6, v201, s[8:9] offset:1024         // 00000000D3E8: DD348400 0008C906
	global_atomic_add_f32 v6, v205, s[8:9] offset:1280         // 00000000D3F0: DD348500 0008CD06
	global_atomic_add_f32 v6, v209, s[8:9] offset:1536         // 00000000D3F8: DD348600 0008D106
	global_atomic_add_f32 v6, v213, s[8:9] offset:1792         // 00000000D400: DD348700 0008D506
	s_mov_b64 exec, s[36:37]                                   // 00000000D408: BEFE0124
	v_mov_b32_e32 v6, v46                                      // 00000000D40C: 7E0C032E
	s_mov_b64 s[60:61], 0                                      // 00000000D410: BEBC0180
	v_readlane_b32 s82, v3, 8                                  // 00000000D414: D2890052 00011103
	s_and_b32 s82, s82, 0xffffff                               // 00000000D41C: 8652FF52 00FFFFFF
	s_cmp_lt_u32 s82, s66                                      // 00000000D424: BF0A4252
	s_cselect_b32 s20, s36, s60                                // 00000000D428: 85143C24
	v_readlane_b32 s82, v3, 9                                  // 00000000D42C: D2890052 00011303
	s_and_b32 s82, s82, 0xffffff                               // 00000000D434: 8652FF52 00FFFFFF
	s_cmp_lt_u32 s82, s66                                      // 00000000D43C: BF0A4252
	s_cselect_b32 s21, s36, s60                                // 00000000D440: 85153C24
	s_mov_b64 exec, s[20:21]                                   // 00000000D444: BEFE0114
	global_atomic_add_f32 v6, v216, s[8:9]                     // 00000000D448: DD348000 0008D806
	global_atomic_add_f32 v6, v220, s[8:9] offset:256          // 00000000D450: DD348100 0008DC06
	global_atomic_add_f32 v6, v224, s[8:9] offset:512          // 00000000D458: DD348200 0008E006
	global_atomic_add_f32 v6, v228, s[8:9] offset:768          // 00000000D460: DD348300 0008E406
	global_atomic_add_f32 v6, v232, s[8:9] offset:1024         // 00000000D468: DD348400 0008E806
	global_atomic_add_f32 v6, v236, s[8:9] offset:1280         // 00000000D470: DD348500 0008EC06
	global_atomic_add_f32 v6, v240, s[8:9] offset:1536         // 00000000D478: DD348600 0008F006
	global_atomic_add_f32 v6, v244, s[8:9] offset:1792         // 00000000D480: DD348700 0008F406
	s_mov_b64 exec, s[36:37]                                   // 00000000D488: BEFE0124
	v_mov_b32_e32 v6, v47                                      // 00000000D48C: 7E0C032F
	s_mov_b64 s[60:61], 0                                      // 00000000D490: BEBC0180
	v_readlane_b32 s82, v3, 10                                 // 00000000D494: D2890052 00011503
	s_and_b32 s82, s82, 0xffffff                               // 00000000D49C: 8652FF52 00FFFFFF
	s_cmp_lt_u32 s82, s66                                      // 00000000D4A4: BF0A4252
	s_cselect_b32 s20, s36, s60                                // 00000000D4A8: 85143C24
	v_readlane_b32 s82, v3, 11                                 // 00000000D4AC: D2890052 00011703
	s_and_b32 s82, s82, 0xffffff                               // 00000000D4B4: 8652FF52 00FFFFFF
	s_cmp_lt_u32 s82, s66                                      // 00000000D4BC: BF0A4252
	s_cselect_b32 s21, s36, s60                                // 00000000D4C0: 85153C24
	s_mov_b64 exec, s[20:21]                                   // 00000000D4C4: BEFE0114
	global_atomic_add_f32 v6, v217, s[8:9]                     // 00000000D4C8: DD348000 0008D906
	global_atomic_add_f32 v6, v221, s[8:9] offset:256          // 00000000D4D0: DD348100 0008DD06
	global_atomic_add_f32 v6, v225, s[8:9] offset:512          // 00000000D4D8: DD348200 0008E106
	global_atomic_add_f32 v6, v229, s[8:9] offset:768          // 00000000D4E0: DD348300 0008E506
	global_atomic_add_f32 v6, v233, s[8:9] offset:1024         // 00000000D4E8: DD348400 0008E906
	global_atomic_add_f32 v6, v237, s[8:9] offset:1280         // 00000000D4F0: DD348500 0008ED06
	global_atomic_add_f32 v6, v241, s[8:9] offset:1536         // 00000000D4F8: DD348600 0008F106
	global_atomic_add_f32 v6, v245, s[8:9] offset:1792         // 00000000D500: DD348700 0008F506
	s_mov_b64 exec, s[36:37]                                   // 00000000D508: BEFE0124
	ds_write_b64 v20, v[154:155]                               // 00000000D50C: D89A0000 00009A14
	ds_write_b64 v20, v[158:159] offset:17408                  // 00000000D514: D89A4400 00009E14
	ds_write_b64 v20, v[162:163] offset:34816                  // 00000000D51C: D89A8800 0000A214
	ds_write_b64 v20, v[166:167] offset:2176                   // 00000000D524: D89A0880 0000A614
	ds_write_b64 v20, v[170:171] offset:19584                  // 00000000D52C: D89A4C80 0000AA14
	ds_write_b64 v20, v[174:175] offset:36992                  // 00000000D534: D89A9080 0000AE14
	ds_write_b64 v20, v[178:179] offset:4352                   // 00000000D53C: D89A1100 0000B214
	ds_write_b64 v20, v[182:183] offset:21760                  // 00000000D544: D89A5500 0000B614
	ds_write_b64 v20, v[186:187] offset:39168                  // 00000000D54C: D89A9900 0000BA14
	ds_write_b64 v20, v[190:191] offset:6528                   // 00000000D554: D89A1980 0000BE14
	ds_write_b64 v20, v[194:195] offset:23936                  // 00000000D55C: D89A5D80 0000C214
	ds_write_b64 v20, v[198:199] offset:41344                  // 00000000D564: D89AA180 0000C614
	ds_write_b64 v20, v[202:203] offset:8704                   // 00000000D56C: D89A2200 0000CA14
	ds_write_b64 v20, v[206:207] offset:26112                  // 00000000D574: D89A6600 0000CE14
	ds_write_b64 v20, v[210:211] offset:43520                  // 00000000D57C: D89AAA00 0000D214
	ds_write_b64 v20, v[214:215] offset:10880                  // 00000000D584: D89A2A80 0000D614
	ds_write_b64 v20, v[218:219] offset:28288                  // 00000000D58C: D89A6E80 0000DA14
	ds_write_b64 v20, v[222:223] offset:45696                  // 00000000D594: D89AB280 0000DE14
	ds_write_b64 v20, v[226:227] offset:13056                  // 00000000D59C: D89A3300 0000E214
	ds_write_b64 v20, v[230:231] offset:30464                  // 00000000D5A4: D89A7700 0000E614
	ds_write_b64 v20, v[234:235] offset:47872                  // 00000000D5AC: D89ABB00 0000EA14
	ds_write_b64 v20, v[238:239] offset:15232                  // 00000000D5B4: D89A3B80 0000EE14
	ds_write_b64 v20, v[242:243] offset:32640                  // 00000000D5BC: D89A7F80 0000F214
	ds_write_b64 v20, v[246:247] offset:50048                  // 00000000D5C4: D89AC380 0000F614
	s_waitcnt lgkmcnt(0)                                       // 00000000D5CC: BF8CC07F
	s_barrier                                                  // 00000000D5D0: BF8A0000
	ds_read_b32 v154, v21                                      // 00000000D5D4: D86C0000 9A000015
	ds_read_b32 v155, v21 offset:64                            // 00000000D5DC: D86C0040 9B000015
	ds_read_b32 v158, v21 offset:2176                          // 00000000D5E4: D86C0880 9E000015
	ds_read_b32 v159, v21 offset:2240                          // 00000000D5EC: D86C08C0 9F000015
	ds_read_b32 v162, v21 offset:4352                          // 00000000D5F4: D86C1100 A2000015
	ds_read_b32 v163, v21 offset:4416                          // 00000000D5FC: D86C1140 A3000015
	ds_read_b32 v166, v21 offset:6528                          // 00000000D604: D86C1980 A6000015
	ds_read_b32 v167, v21 offset:6592                          // 00000000D60C: D86C19C0 A7000015
	ds_read_b32 v170, v21 offset:8704                          // 00000000D614: D86C2200 AA000015
	ds_read_b32 v171, v21 offset:8768                          // 00000000D61C: D86C2240 AB000015
	ds_read_b32 v174, v21 offset:10880                         // 00000000D624: D86C2A80 AE000015
	ds_read_b32 v175, v21 offset:10944                         // 00000000D62C: D86C2AC0 AF000015
	ds_read_b32 v178, v21 offset:13056                         // 00000000D634: D86C3300 B2000015
	ds_read_b32 v179, v21 offset:13120                         // 00000000D63C: D86C3340 B3000015
	ds_read_b32 v182, v21 offset:15232                         // 00000000D644: D86C3B80 B6000015
	ds_read_b32 v183, v21 offset:15296                         // 00000000D64C: D86C3BC0 B7000015
	ds_read_b32 v186, v21 offset:17408                         // 00000000D654: D86C4400 BA000015
	ds_read_b32 v187, v21 offset:17472                         // 00000000D65C: D86C4440 BB000015
	ds_read_b32 v190, v21 offset:19584                         // 00000000D664: D86C4C80 BE000015
	ds_read_b32 v191, v21 offset:19648                         // 00000000D66C: D86C4CC0 BF000015
	ds_read_b32 v194, v21 offset:21760                         // 00000000D674: D86C5500 C2000015
	ds_read_b32 v195, v21 offset:21824                         // 00000000D67C: D86C5540 C3000015
	ds_read_b32 v198, v21 offset:23936                         // 00000000D684: D86C5D80 C6000015
	ds_read_b32 v199, v21 offset:24000                         // 00000000D68C: D86C5DC0 C7000015
	ds_read_b32 v202, v21 offset:26112                         // 00000000D694: D86C6600 CA000015
	ds_read_b32 v203, v21 offset:26176                         // 00000000D69C: D86C6640 CB000015
	ds_read_b32 v206, v21 offset:28288                         // 00000000D6A4: D86C6E80 CE000015
	ds_read_b32 v207, v21 offset:28352                         // 00000000D6AC: D86C6EC0 CF000015
	ds_read_b32 v210, v21 offset:30464                         // 00000000D6B4: D86C7700 D2000015
	ds_read_b32 v211, v21 offset:30528                         // 00000000D6BC: D86C7740 D3000015
	ds_read_b32 v214, v21 offset:32640                         // 00000000D6C4: D86C7F80 D6000015
	ds_read_b32 v215, v21 offset:32704                         // 00000000D6CC: D86C7FC0 D7000015
	ds_read_b32 v218, v21 offset:34816                         // 00000000D6D4: D86C8800 DA000015
	ds_read_b32 v219, v21 offset:34880                         // 00000000D6DC: D86C8840 DB000015
	ds_read_b32 v222, v21 offset:36992                         // 00000000D6E4: D86C9080 DE000015
	ds_read_b32 v223, v21 offset:37056                         // 00000000D6EC: D86C90C0 DF000015
	ds_read_b32 v226, v21 offset:39168                         // 00000000D6F4: D86C9900 E2000015
	ds_read_b32 v227, v21 offset:39232                         // 00000000D6FC: D86C9940 E3000015
	ds_read_b32 v230, v21 offset:41344                         // 00000000D704: D86CA180 E6000015
	ds_read_b32 v231, v21 offset:41408                         // 00000000D70C: D86CA1C0 E7000015
	ds_read_b32 v234, v21 offset:43520                         // 00000000D714: D86CAA00 EA000015
	ds_read_b32 v235, v21 offset:43584                         // 00000000D71C: D86CAA40 EB000015
	ds_read_b32 v238, v21 offset:45696                         // 00000000D724: D86CB280 EE000015
	ds_read_b32 v239, v21 offset:45760                         // 00000000D72C: D86CB2C0 EF000015
	ds_read_b32 v242, v21 offset:47872                         // 00000000D734: D86CBB00 F2000015
	ds_read_b32 v243, v21 offset:47936                         // 00000000D73C: D86CBB40 F3000015
	ds_read_b32 v246, v21 offset:50048                         // 00000000D744: D86CC380 F6000015
	ds_read_b32 v247, v21 offset:50112                         // 00000000D74C: D86CC3C0 F7000015
	s_waitcnt lgkmcnt(0)                                       // 00000000D754: BF8CC07F
	v_mov_b32_e32 v7, 0                                        // 00000000D758: 7E0E0280
	s_mov_b64 exec, s[36:37]                                   // 00000000D75C: BEFE0124
	v_mov_b32_e32 v6, v42                                      // 00000000D760: 7E0C032A
	s_mov_b64 s[60:61], 0                                      // 00000000D764: BEBC0180
	v_readlane_b32 s82, v3, 0                                  // 00000000D768: D2890052 00010103
	s_and_b32 s82, s82, 0xffffff                               // 00000000D770: 8652FF52 00FFFFFF
	s_cmp_lt_u32 s82, s66                                      // 00000000D778: BF0A4252
	s_cselect_b32 s20, s36, s60                                // 00000000D77C: 85143C24
	v_readlane_b32 s82, v3, 1                                  // 00000000D780: D2890052 00010303
	s_and_b32 s82, s82, 0xffffff                               // 00000000D788: 8652FF52 00FFFFFF
	s_cmp_lt_u32 s82, s66                                      // 00000000D790: BF0A4252
	s_cselect_b32 s21, s36, s60                                // 00000000D794: 85153C24
	s_mov_b64 exec, s[20:21]                                   // 00000000D798: BEFE0114
	global_atomic_add_f32 v6, v154, s[8:9] offset:8            // 00000000D79C: DD348008 00089A06
	global_atomic_add_f32 v6, v158, s[8:9] offset:264          // 00000000D7A4: DD348108 00089E06
	global_atomic_add_f32 v6, v162, s[8:9] offset:520          // 00000000D7AC: DD348208 0008A206
	global_atomic_add_f32 v6, v166, s[8:9] offset:776          // 00000000D7B4: DD348308 0008A606
	global_atomic_add_f32 v6, v170, s[8:9] offset:1032         // 00000000D7BC: DD348408 0008AA06
	global_atomic_add_f32 v6, v174, s[8:9] offset:1288         // 00000000D7C4: DD348508 0008AE06
	global_atomic_add_f32 v6, v178, s[8:9] offset:1544         // 00000000D7CC: DD348608 0008B206
	global_atomic_add_f32 v6, v182, s[8:9] offset:1800         // 00000000D7D4: DD348708 0008B606
	s_mov_b64 exec, s[36:37]                                   // 00000000D7DC: BEFE0124
	v_mov_b32_e32 v6, v43                                      // 00000000D7E0: 7E0C032B
	s_mov_b64 s[60:61], 0                                      // 00000000D7E4: BEBC0180
	v_readlane_b32 s82, v3, 2                                  // 00000000D7E8: D2890052 00010503
	s_and_b32 s82, s82, 0xffffff                               // 00000000D7F0: 8652FF52 00FFFFFF
	s_cmp_lt_u32 s82, s66                                      // 00000000D7F8: BF0A4252
	s_cselect_b32 s20, s36, s60                                // 00000000D7FC: 85143C24
	v_readlane_b32 s82, v3, 3                                  // 00000000D800: D2890052 00010703
	s_and_b32 s82, s82, 0xffffff                               // 00000000D808: 8652FF52 00FFFFFF
	s_cmp_lt_u32 s82, s66                                      // 00000000D810: BF0A4252
	s_cselect_b32 s21, s36, s60                                // 00000000D814: 85153C24
	s_mov_b64 exec, s[20:21]                                   // 00000000D818: BEFE0114
	global_atomic_add_f32 v6, v155, s[8:9] offset:8            // 00000000D81C: DD348008 00089B06
	global_atomic_add_f32 v6, v159, s[8:9] offset:264          // 00000000D824: DD348108 00089F06
	global_atomic_add_f32 v6, v163, s[8:9] offset:520          // 00000000D82C: DD348208 0008A306
	global_atomic_add_f32 v6, v167, s[8:9] offset:776          // 00000000D834: DD348308 0008A706
	global_atomic_add_f32 v6, v171, s[8:9] offset:1032         // 00000000D83C: DD348408 0008AB06
	global_atomic_add_f32 v6, v175, s[8:9] offset:1288         // 00000000D844: DD348508 0008AF06
	global_atomic_add_f32 v6, v179, s[8:9] offset:1544         // 00000000D84C: DD348608 0008B306
	global_atomic_add_f32 v6, v183, s[8:9] offset:1800         // 00000000D854: DD348708 0008B706
	s_mov_b64 exec, s[36:37]                                   // 00000000D85C: BEFE0124
	v_mov_b32_e32 v6, v44                                      // 00000000D860: 7E0C032C
	s_mov_b64 s[60:61], 0                                      // 00000000D864: BEBC0180
	v_readlane_b32 s82, v3, 4                                  // 00000000D868: D2890052 00010903
	s_and_b32 s82, s82, 0xffffff                               // 00000000D870: 8652FF52 00FFFFFF
	s_cmp_lt_u32 s82, s66                                      // 00000000D878: BF0A4252
	s_cselect_b32 s20, s36, s60                                // 00000000D87C: 85143C24
	v_readlane_b32 s82, v3, 5                                  // 00000000D880: D2890052 00010B03
	s_and_b32 s82, s82, 0xffffff                               // 00000000D888: 8652FF52 00FFFFFF
	s_cmp_lt_u32 s82, s66                                      // 00000000D890: BF0A4252
	s_cselect_b32 s21, s36, s60                                // 00000000D894: 85153C24
	s_mov_b64 exec, s[20:21]                                   // 00000000D898: BEFE0114
	global_atomic_add_f32 v6, v186, s[8:9] offset:8            // 00000000D89C: DD348008 0008BA06
	global_atomic_add_f32 v6, v190, s[8:9] offset:264          // 00000000D8A4: DD348108 0008BE06
	global_atomic_add_f32 v6, v194, s[8:9] offset:520          // 00000000D8AC: DD348208 0008C206
	global_atomic_add_f32 v6, v198, s[8:9] offset:776          // 00000000D8B4: DD348308 0008C606
	global_atomic_add_f32 v6, v202, s[8:9] offset:1032         // 00000000D8BC: DD348408 0008CA06
	global_atomic_add_f32 v6, v206, s[8:9] offset:1288         // 00000000D8C4: DD348508 0008CE06
	global_atomic_add_f32 v6, v210, s[8:9] offset:1544         // 00000000D8CC: DD348608 0008D206
	global_atomic_add_f32 v6, v214, s[8:9] offset:1800         // 00000000D8D4: DD348708 0008D606
	s_mov_b64 exec, s[36:37]                                   // 00000000D8DC: BEFE0124
	v_mov_b32_e32 v6, v45                                      // 00000000D8E0: 7E0C032D
	s_mov_b64 s[60:61], 0                                      // 00000000D8E4: BEBC0180
	v_readlane_b32 s82, v3, 6                                  // 00000000D8E8: D2890052 00010D03
	s_and_b32 s82, s82, 0xffffff                               // 00000000D8F0: 8652FF52 00FFFFFF
	s_cmp_lt_u32 s82, s66                                      // 00000000D8F8: BF0A4252
	s_cselect_b32 s20, s36, s60                                // 00000000D8FC: 85143C24
	v_readlane_b32 s82, v3, 7                                  // 00000000D900: D2890052 00010F03
	s_and_b32 s82, s82, 0xffffff                               // 00000000D908: 8652FF52 00FFFFFF
	s_cmp_lt_u32 s82, s66                                      // 00000000D910: BF0A4252
	s_cselect_b32 s21, s36, s60                                // 00000000D914: 85153C24
	s_mov_b64 exec, s[20:21]                                   // 00000000D918: BEFE0114
	global_atomic_add_f32 v6, v187, s[8:9] offset:8            // 00000000D91C: DD348008 0008BB06
	global_atomic_add_f32 v6, v191, s[8:9] offset:264          // 00000000D924: DD348108 0008BF06
	global_atomic_add_f32 v6, v195, s[8:9] offset:520          // 00000000D92C: DD348208 0008C306
	global_atomic_add_f32 v6, v199, s[8:9] offset:776          // 00000000D934: DD348308 0008C706
	global_atomic_add_f32 v6, v203, s[8:9] offset:1032         // 00000000D93C: DD348408 0008CB06
	global_atomic_add_f32 v6, v207, s[8:9] offset:1288         // 00000000D944: DD348508 0008CF06
	global_atomic_add_f32 v6, v211, s[8:9] offset:1544         // 00000000D94C: DD348608 0008D306
	global_atomic_add_f32 v6, v215, s[8:9] offset:1800         // 00000000D954: DD348708 0008D706
	s_mov_b64 exec, s[36:37]                                   // 00000000D95C: BEFE0124
	v_mov_b32_e32 v6, v46                                      // 00000000D960: 7E0C032E
	s_mov_b64 s[60:61], 0                                      // 00000000D964: BEBC0180
	v_readlane_b32 s82, v3, 8                                  // 00000000D968: D2890052 00011103
	s_and_b32 s82, s82, 0xffffff                               // 00000000D970: 8652FF52 00FFFFFF
	s_cmp_lt_u32 s82, s66                                      // 00000000D978: BF0A4252
	s_cselect_b32 s20, s36, s60                                // 00000000D97C: 85143C24
	v_readlane_b32 s82, v3, 9                                  // 00000000D980: D2890052 00011303
	s_and_b32 s82, s82, 0xffffff                               // 00000000D988: 8652FF52 00FFFFFF
	s_cmp_lt_u32 s82, s66                                      // 00000000D990: BF0A4252
	s_cselect_b32 s21, s36, s60                                // 00000000D994: 85153C24
	s_mov_b64 exec, s[20:21]                                   // 00000000D998: BEFE0114
	global_atomic_add_f32 v6, v218, s[8:9] offset:8            // 00000000D99C: DD348008 0008DA06
	global_atomic_add_f32 v6, v222, s[8:9] offset:264          // 00000000D9A4: DD348108 0008DE06
	global_atomic_add_f32 v6, v226, s[8:9] offset:520          // 00000000D9AC: DD348208 0008E206
	global_atomic_add_f32 v6, v230, s[8:9] offset:776          // 00000000D9B4: DD348308 0008E606
	global_atomic_add_f32 v6, v234, s[8:9] offset:1032         // 00000000D9BC: DD348408 0008EA06
	global_atomic_add_f32 v6, v238, s[8:9] offset:1288         // 00000000D9C4: DD348508 0008EE06
	global_atomic_add_f32 v6, v242, s[8:9] offset:1544         // 00000000D9CC: DD348608 0008F206
	global_atomic_add_f32 v6, v246, s[8:9] offset:1800         // 00000000D9D4: DD348708 0008F606
	s_mov_b64 exec, s[36:37]                                   // 00000000D9DC: BEFE0124
	v_mov_b32_e32 v6, v47                                      // 00000000D9E0: 7E0C032F
	s_mov_b64 s[60:61], 0                                      // 00000000D9E4: BEBC0180
	v_readlane_b32 s82, v3, 10                                 // 00000000D9E8: D2890052 00011503
	s_and_b32 s82, s82, 0xffffff                               // 00000000D9F0: 8652FF52 00FFFFFF
	s_cmp_lt_u32 s82, s66                                      // 00000000D9F8: BF0A4252
	s_cselect_b32 s20, s36, s60                                // 00000000D9FC: 85143C24
	v_readlane_b32 s82, v3, 11                                 // 00000000DA00: D2890052 00011703
	s_and_b32 s82, s82, 0xffffff                               // 00000000DA08: 8652FF52 00FFFFFF
	s_cmp_lt_u32 s82, s66                                      // 00000000DA10: BF0A4252
	s_cselect_b32 s21, s36, s60                                // 00000000DA14: 85153C24
	s_mov_b64 exec, s[20:21]                                   // 00000000DA18: BEFE0114
	global_atomic_add_f32 v6, v219, s[8:9] offset:8            // 00000000DA1C: DD348008 0008DB06
	global_atomic_add_f32 v6, v223, s[8:9] offset:264          // 00000000DA24: DD348108 0008DF06
	global_atomic_add_f32 v6, v227, s[8:9] offset:520          // 00000000DA2C: DD348208 0008E306
	global_atomic_add_f32 v6, v231, s[8:9] offset:776          // 00000000DA34: DD348308 0008E706
	global_atomic_add_f32 v6, v235, s[8:9] offset:1032         // 00000000DA3C: DD348408 0008EB06
	global_atomic_add_f32 v6, v239, s[8:9] offset:1288         // 00000000DA44: DD348508 0008EF06
	global_atomic_add_f32 v6, v243, s[8:9] offset:1544         // 00000000DA4C: DD348608 0008F306
	global_atomic_add_f32 v6, v247, s[8:9] offset:1800         // 00000000DA54: DD348708 0008F706
	s_mov_b64 exec, s[36:37]                                   // 00000000DA5C: BEFE0124
	s_branch label_553E                                        // 00000000DA60: BF822922

000000000000da64 <label_2C1C>:
	s_waitcnt vmcnt(26) lgkmcnt(0)                             // 00000000DA64: BF8C407A
	v_mul_f32_dpp v4, v24, v33 row_newbcast:0 row_mask:0xf bank_mask:0xf// 00000000DA68: 0A0842FA FF015018
	v_mfma_f32_16x16x32_fp8_fp8 v[8:11], a[48:49], a[0:1], 0   // 00000000DA70: D3F30008 1A020130
	buffer_load_dword v25, v22, s[32:35], 0 offen              // 00000000DA78: E0501000 80081916
	buffer_load_dwordx4 a[176:179], v48, s[24:27], 0 offen     // 00000000DA80: E05C1000 8086B030
	v_mfma_f32_16x16x32_fp8_fp8 v[8:11], a[50:51], a[2:3], v[8:11]// 00000000DA88: D3F30008 1C220532
	v_mfma_f32_16x16x32_fp8_fp8 v[8:11], a[52:53], a[4:5], v[8:11]// 00000000DA90: D3F30008 1C220934
	v_mfma_f32_16x16x32_fp8_fp8 v[8:11], a[54:55], a[6:7], v[8:11]// 00000000DA98: D3F30008 1C220D36
	v_mfma_f32_16x16x32_fp8_fp8 v[12:15], a[56:57], a[0:1], 0  // 00000000DAA0: D3F3000C 1A020138
	buffer_load_dwordx4 a[180:183], v48, s[24:27], 0 offen offset:1024// 00000000DAA8: E05C1400 8086B430
	v_mfma_f32_16x16x32_fp8_fp8 v[12:15], a[58:59], a[2:3], v[12:15]// 00000000DAB0: D3F3000C 1C32053A
	v_mfma_f32_16x16x32_fp8_fp8 v[12:15], a[60:61], a[4:5], v[12:15]// 00000000DAB8: D3F3000C 1C32093C
	v_mfma_f32_16x16x32_fp8_fp8 v[12:15], a[62:63], a[6:7], v[12:15]// 00000000DAC0: D3F3000C 1C320D3E
	v_fma_f32 v56, v8, v4, v56                                 // 00000000DAC8: D1CB0038 04E20908
	v_fma_f32 v57, v9, v4, v57                                 // 00000000DAD0: D1CB0039 04E60909
	v_fma_f32 v58, v10, v4, v58                                // 00000000DAD8: D1CB003A 04EA090A
	v_fma_f32 v59, v11, v4, v59                                // 00000000DAE0: D1CB003B 04EE090B
	v_mul_f32_dpp v6, v24, v33 row_newbcast:1 row_mask:0xf bank_mask:0xf// 00000000DAE8: 0A0C42FA FF015118
	v_mfma_f32_16x16x32_fp8_fp8 v[8:11], a[64:65], a[0:1], 0   // 00000000DAF0: D3F30008 1A020140
	buffer_load_dwordx4 a[184:187], v49, s[24:27], 0 offen     // 00000000DAF8: E05C1000 8086B831
	v_mfma_f32_16x16x32_fp8_fp8 v[8:11], a[66:67], a[2:3], v[8:11]// 00000000DB00: D3F30008 1C220542
	v_mfma_f32_16x16x32_fp8_fp8 v[8:11], a[68:69], a[4:5], v[8:11]// 00000000DB08: D3F30008 1C220944
	v_mfma_f32_16x16x32_fp8_fp8 v[8:11], a[70:71], a[6:7], v[8:11]// 00000000DB10: D3F30008 1C220D46
	v_fma_f32 v68, v12, v4, v68                                // 00000000DB18: D1CB0044 0512090C
	v_fma_f32 v69, v13, v4, v69                                // 00000000DB20: D1CB0045 0516090D
	v_fma_f32 v70, v14, v4, v70                                // 00000000DB28: D1CB0046 051A090E
	v_fma_f32 v71, v15, v4, v71                                // 00000000DB30: D1CB0047 051E090F
	v_mfma_f32_16x16x32_fp8_fp8 v[12:15], a[72:73], a[0:1], 0  // 00000000DB38: D3F3000C 1A020148
	buffer_load_dwordx4 a[188:191], v49, s[24:27], 0 offen offset:1024// 00000000DB40: E05C1400 8086BC31
	v_mfma_f32_16x16x32_fp8_fp8 v[12:15], a[74:75], a[2:3], v[12:15]// 00000000DB48: D3F3000C 1C32054A
	v_mfma_f32_16x16x32_fp8_fp8 v[12:15], a[76:77], a[4:5], v[12:15]// 00000000DB50: D3F3000C 1C32094C
	v_mfma_f32_16x16x32_fp8_fp8 v[12:15], a[78:79], a[6:7], v[12:15]// 00000000DB58: D3F3000C 1C320D4E
	v_fma_f32 v80, v8, v6, v80                                 // 00000000DB60: D1CB0050 05420D08
	v_fma_f32 v81, v9, v6, v81                                 // 00000000DB68: D1CB0051 05460D09
	v_fma_f32 v82, v10, v6, v82                                // 00000000DB70: D1CB0052 054A0D0A
	v_fma_f32 v83, v11, v6, v83                                // 00000000DB78: D1CB0053 054E0D0B
	v_mul_f32_dpp v4, v24, v33 row_newbcast:2 row_mask:0xf bank_mask:0xf// 00000000DB80: 0A0842FA FF015218
	v_mfma_f32_16x16x32_fp8_fp8 v[8:11], a[80:81], a[0:1], 0   // 00000000DB88: D3F30008 1A020150
	buffer_load_dwordx4 a[192:195], v50, s[24:27], 0 offen     // 00000000DB90: E05C1000 8086C032
	v_mfma_f32_16x16x32_fp8_fp8 v[8:11], a[82:83], a[2:3], v[8:11]// 00000000DB98: D3F30008 1C220552
	v_mfma_f32_16x16x32_fp8_fp8 v[8:11], a[84:85], a[4:5], v[8:11]// 00000000DBA0: D3F30008 1C220954
	v_mfma_f32_16x16x32_fp8_fp8 v[8:11], a[86:87], a[6:7], v[8:11]// 00000000DBA8: D3F30008 1C220D56
	v_fma_f32 v92, v12, v6, v92                                // 00000000DBB0: D1CB005C 05720D0C
	v_fma_f32 v93, v13, v6, v93                                // 00000000DBB8: D1CB005D 05760D0D
	v_fma_f32 v94, v14, v6, v94                                // 00000000DBC0: D1CB005E 057A0D0E
	v_fma_f32 v95, v15, v6, v95                                // 00000000DBC8: D1CB005F 057E0D0F
	v_mfma_f32_16x16x32_fp8_fp8 v[12:15], a[88:89], a[0:1], 0  // 00000000DBD0: D3F3000C 1A020158
	buffer_load_dwordx4 a[196:199], v50, s[24:27], 0 offen offset:1024// 00000000DBD8: E05C1400 8086C432
	v_mfma_f32_16x16x32_fp8_fp8 v[12:15], a[90:91], a[2:3], v[12:15]// 00000000DBE0: D3F3000C 1C32055A
	v_mfma_f32_16x16x32_fp8_fp8 v[12:15], a[92:93], a[4:5], v[12:15]// 00000000DBE8: D3F3000C 1C32095C
	v_mfma_f32_16x16x32_fp8_fp8 v[12:15], a[94:95], a[6:7], v[12:15]// 00000000DBF0: D3F3000C 1C320D5E
	v_fma_f32 v104, v8, v4, v104                               // 00000000DBF8: D1CB0068 05A20908
	v_fma_f32 v105, v9, v4, v105                               // 00000000DC00: D1CB0069 05A60909
	v_fma_f32 v106, v10, v4, v106                              // 00000000DC08: D1CB006A 05AA090A
	v_fma_f32 v107, v11, v4, v107                              // 00000000DC10: D1CB006B 05AE090B
	v_mul_f32_dpp v6, v24, v33 row_newbcast:3 row_mask:0xf bank_mask:0xf// 00000000DC18: 0A0C42FA FF015318
	v_mfma_f32_16x16x32_fp8_fp8 v[8:11], a[96:97], a[0:1], 0   // 00000000DC20: D3F30008 1A020160
	buffer_load_dwordx4 a[200:203], v51, s[24:27], 0 offen     // 00000000DC28: E05C1000 8086C833
	v_mfma_f32_16x16x32_fp8_fp8 v[8:11], a[98:99], a[2:3], v[8:11]// 00000000DC30: D3F30008 1C220562
	v_mfma_f32_16x16x32_fp8_fp8 v[8:11], a[100:101], a[4:5], v[8:11]// 00000000DC38: D3F30008 1C220964
	v_mfma_f32_16x16x32_fp8_fp8 v[8:11], a[102:103], a[6:7], v[8:11]// 00000000DC40: D3F30008 1C220D66
	v_fma_f32 v116, v12, v4, v116                              // 00000000DC48: D1CB0074 05D2090C
	v_fma_f32 v117, v13, v4, v117                              // 00000000DC50: D1CB0075 05D6090D
	v_fma_f32 v118, v14, v4, v118                              // 00000000DC58: D1CB0076 05DA090E
	v_fma_f32 v119, v15, v4, v119                              // 00000000DC60: D1CB0077 05DE090F
	v_mfma_f32_16x16x32_fp8_fp8 v[12:15], a[104:105], a[0:1], 0// 00000000DC68: D3F3000C 1A020168
	buffer_load_dwordx4 a[204:207], v51, s[24:27], 0 offen offset:1024// 00000000DC70: E05C1400 8086CC33
	v_mfma_f32_16x16x32_fp8_fp8 v[12:15], a[106:107], a[2:3], v[12:15]// 00000000DC78: D3F3000C 1C32056A
	v_mfma_f32_16x16x32_fp8_fp8 v[12:15], a[108:109], a[4:5], v[12:15]// 00000000DC80: D3F3000C 1C32096C
	v_mfma_f32_16x16x32_fp8_fp8 v[12:15], a[110:111], a[6:7], v[12:15]// 00000000DC88: D3F3000C 1C320D6E
	v_fma_f32 v128, v8, v6, v128                               // 00000000DC90: D1CB0080 06020D08
	v_fma_f32 v129, v9, v6, v129                               // 00000000DC98: D1CB0081 06060D09
	v_fma_f32 v130, v10, v6, v130                              // 00000000DCA0: D1CB0082 060A0D0A
	v_fma_f32 v131, v11, v6, v131                              // 00000000DCA8: D1CB0083 060E0D0B
	v_mul_f32_dpp v4, v24, v34 row_newbcast:0 row_mask:0xf bank_mask:0xf// 00000000DCB0: 0A0844FA FF015018
	v_mfma_f32_16x16x32_fp8_fp8 v[8:11], a[48:49], a[8:9], 0   // 00000000DCB8: D3F30008 1A021130
	buffer_load_dwordx4 a[208:211], v52, s[24:27], 0 offen     // 00000000DCC0: E05C1000 8086D034
	v_mfma_f32_16x16x32_fp8_fp8 v[8:11], a[50:51], a[10:11], v[8:11]// 00000000DCC8: D3F30008 1C221532
	v_mfma_f32_16x16x32_fp8_fp8 v[8:11], a[52:53], a[12:13], v[8:11]// 00000000DCD0: D3F30008 1C221934
	v_mfma_f32_16x16x32_fp8_fp8 v[8:11], a[54:55], a[14:15], v[8:11]// 00000000DCD8: D3F30008 1C221D36
	v_fma_f32 v140, v12, v6, v140                              // 00000000DCE0: D1CB008C 06320D0C
	v_fma_f32 v141, v13, v6, v141                              // 00000000DCE8: D1CB008D 06360D0D
	v_fma_f32 v142, v14, v6, v142                              // 00000000DCF0: D1CB008E 063A0D0E
	v_fma_f32 v143, v15, v6, v143                              // 00000000DCF8: D1CB008F 063E0D0F
	v_mfma_f32_16x16x32_fp8_fp8 v[12:15], a[56:57], a[8:9], 0  // 00000000DD00: D3F3000C 1A021138
	buffer_load_dwordx4 a[212:215], v52, s[24:27], 0 offen offset:1024// 00000000DD08: E05C1400 8086D434
	v_mfma_f32_16x16x32_fp8_fp8 v[12:15], a[58:59], a[10:11], v[12:15]// 00000000DD10: D3F3000C 1C32153A
	v_mfma_f32_16x16x32_fp8_fp8 v[12:15], a[60:61], a[12:13], v[12:15]// 00000000DD18: D3F3000C 1C32193C
	v_mfma_f32_16x16x32_fp8_fp8 v[12:15], a[62:63], a[14:15], v[12:15]// 00000000DD20: D3F3000C 1C321D3E
	v_fma_f32 v60, v8, v4, v60                                 // 00000000DD28: D1CB003C 04F20908
	v_fma_f32 v61, v9, v4, v61                                 // 00000000DD30: D1CB003D 04F60909
	v_fma_f32 v62, v10, v4, v62                                // 00000000DD38: D1CB003E 04FA090A
	v_fma_f32 v63, v11, v4, v63                                // 00000000DD40: D1CB003F 04FE090B
	v_mul_f32_dpp v6, v24, v34 row_newbcast:1 row_mask:0xf bank_mask:0xf// 00000000DD48: 0A0C44FA FF015118
	v_mfma_f32_16x16x32_fp8_fp8 v[8:11], a[64:65], a[8:9], 0   // 00000000DD50: D3F30008 1A021140
	buffer_load_dwordx4 a[216:219], v53, s[24:27], 0 offen     // 00000000DD58: E05C1000 8086D835
	v_mfma_f32_16x16x32_fp8_fp8 v[8:11], a[66:67], a[10:11], v[8:11]// 00000000DD60: D3F30008 1C221542
	v_mfma_f32_16x16x32_fp8_fp8 v[8:11], a[68:69], a[12:13], v[8:11]// 00000000DD68: D3F30008 1C221944
	v_mfma_f32_16x16x32_fp8_fp8 v[8:11], a[70:71], a[14:15], v[8:11]// 00000000DD70: D3F30008 1C221D46
	v_fma_f32 v72, v12, v4, v72                                // 00000000DD78: D1CB0048 0522090C
	v_fma_f32 v73, v13, v4, v73                                // 00000000DD80: D1CB0049 0526090D
	v_fma_f32 v74, v14, v4, v74                                // 00000000DD88: D1CB004A 052A090E
	v_fma_f32 v75, v15, v4, v75                                // 00000000DD90: D1CB004B 052E090F
	v_mfma_f32_16x16x32_fp8_fp8 v[12:15], a[72:73], a[8:9], 0  // 00000000DD98: D3F3000C 1A021148
	buffer_load_dwordx4 a[220:223], v53, s[24:27], 0 offen offset:1024// 00000000DDA0: E05C1400 8086DC35
	v_mfma_f32_16x16x32_fp8_fp8 v[12:15], a[74:75], a[10:11], v[12:15]// 00000000DDA8: D3F3000C 1C32154A
	v_mfma_f32_16x16x32_fp8_fp8 v[12:15], a[76:77], a[12:13], v[12:15]// 00000000DDB0: D3F3000C 1C32194C
	v_mfma_f32_16x16x32_fp8_fp8 v[12:15], a[78:79], a[14:15], v[12:15]// 00000000DDB8: D3F3000C 1C321D4E
	v_fma_f32 v84, v8, v6, v84                                 // 00000000DDC0: D1CB0054 05520D08
	v_fma_f32 v85, v9, v6, v85                                 // 00000000DDC8: D1CB0055 05560D09
	v_fma_f32 v86, v10, v6, v86                                // 00000000DDD0: D1CB0056 055A0D0A
	v_fma_f32 v87, v11, v6, v87                                // 00000000DDD8: D1CB0057 055E0D0B
	v_mul_f32_dpp v4, v24, v34 row_newbcast:2 row_mask:0xf bank_mask:0xf// 00000000DDE0: 0A0844FA FF015218
	v_mfma_f32_16x16x32_fp8_fp8 v[8:11], a[80:81], a[8:9], 0   // 00000000DDE8: D3F30008 1A021150
	buffer_load_dwordx4 a[224:227], v54, s[24:27], 0 offen     // 00000000DDF0: E05C1000 8086E036
	v_mfma_f32_16x16x32_fp8_fp8 v[8:11], a[82:83], a[10:11], v[8:11]// 00000000DDF8: D3F30008 1C221552
	v_mfma_f32_16x16x32_fp8_fp8 v[8:11], a[84:85], a[12:13], v[8:11]// 00000000DE00: D3F30008 1C221954
	v_mfma_f32_16x16x32_fp8_fp8 v[8:11], a[86:87], a[14:15], v[8:11]// 00000000DE08: D3F30008 1C221D56
	v_fma_f32 v96, v12, v6, v96                                // 00000000DE10: D1CB0060 05820D0C
	v_fma_f32 v97, v13, v6, v97                                // 00000000DE18: D1CB0061 05860D0D
	v_fma_f32 v98, v14, v6, v98                                // 00000000DE20: D1CB0062 058A0D0E
	v_fma_f32 v99, v15, v6, v99                                // 00000000DE28: D1CB0063 058E0D0F
	v_mfma_f32_16x16x32_fp8_fp8 v[12:15], a[88:89], a[8:9], 0  // 00000000DE30: D3F3000C 1A021158
	buffer_load_dwordx4 a[228:231], v54, s[24:27], 0 offen offset:1024// 00000000DE38: E05C1400 8086E436
	v_mfma_f32_16x16x32_fp8_fp8 v[12:15], a[90:91], a[10:11], v[12:15]// 00000000DE40: D3F3000C 1C32155A
	v_mfma_f32_16x16x32_fp8_fp8 v[12:15], a[92:93], a[12:13], v[12:15]// 00000000DE48: D3F3000C 1C32195C
	v_mfma_f32_16x16x32_fp8_fp8 v[12:15], a[94:95], a[14:15], v[12:15]// 00000000DE50: D3F3000C 1C321D5E
	v_fma_f32 v108, v8, v4, v108                               // 00000000DE58: D1CB006C 05B20908
	v_fma_f32 v109, v9, v4, v109                               // 00000000DE60: D1CB006D 05B60909
	v_fma_f32 v110, v10, v4, v110                              // 00000000DE68: D1CB006E 05BA090A
	v_fma_f32 v111, v11, v4, v111                              // 00000000DE70: D1CB006F 05BE090B
	v_mul_f32_dpp v6, v24, v34 row_newbcast:3 row_mask:0xf bank_mask:0xf// 00000000DE78: 0A0C44FA FF015318
	v_mfma_f32_16x16x32_fp8_fp8 v[8:11], a[96:97], a[8:9], 0   // 00000000DE80: D3F30008 1A021160
	buffer_load_dwordx4 a[232:235], v55, s[24:27], 0 offen     // 00000000DE88: E05C1000 8086E837
	v_mfma_f32_16x16x32_fp8_fp8 v[8:11], a[98:99], a[10:11], v[8:11]// 00000000DE90: D3F30008 1C221562
	v_mfma_f32_16x16x32_fp8_fp8 v[8:11], a[100:101], a[12:13], v[8:11]// 00000000DE98: D3F30008 1C221964
	v_mfma_f32_16x16x32_fp8_fp8 v[8:11], a[102:103], a[14:15], v[8:11]// 00000000DEA0: D3F30008 1C221D66
	v_fma_f32 v120, v12, v4, v120                              // 00000000DEA8: D1CB0078 05E2090C
	v_fma_f32 v121, v13, v4, v121                              // 00000000DEB0: D1CB0079 05E6090D
	v_fma_f32 v122, v14, v4, v122                              // 00000000DEB8: D1CB007A 05EA090E
	v_fma_f32 v123, v15, v4, v123                              // 00000000DEC0: D1CB007B 05EE090F
	v_mfma_f32_16x16x32_fp8_fp8 v[12:15], a[104:105], a[8:9], 0// 00000000DEC8: D3F3000C 1A021168
	buffer_load_dwordx4 a[236:239], v55, s[24:27], 0 offen offset:1024// 00000000DED0: E05C1400 8086EC37
	buffer_load_dword v42, s[20:23], 0 offen lds               // 00000000DED8: E0511000 8005002A
	s_add_u32 m0, 0x100, s50                                   // 00000000DEE0: 807C32FF 00000100
	v_mfma_f32_16x16x32_fp8_fp8 v[12:15], a[106:107], a[10:11], v[12:15]// 00000000DEE8: D3F3000C 1C32156A
	v_mfma_f32_16x16x32_fp8_fp8 v[12:15], a[108:109], a[12:13], v[12:15]// 00000000DEF0: D3F3000C 1C32196C
	buffer_load_dword v43, s[20:23], 0 offen lds               // 00000000DEF8: E0511000 8005002B
	s_add_u32 m0, 0x200, s50                                   // 00000000DF00: 807C32FF 00000200
	v_mfma_f32_16x16x32_fp8_fp8 v[12:15], a[110:111], a[14:15], v[12:15]// 00000000DF08: D3F3000C 1C321D6E
	v_fma_f32 v132, v8, v6, v132                               // 00000000DF10: D1CB0084 06120D08
	v_fma_f32 v133, v9, v6, v133                               // 00000000DF18: D1CB0085 06160D09
	v_fma_f32 v134, v10, v6, v134                              // 00000000DF20: D1CB0086 061A0D0A
	v_fma_f32 v135, v11, v6, v135                              // 00000000DF28: D1CB0087 061E0D0B
	v_mul_f32_dpp v4, v24, v35 row_newbcast:0 row_mask:0xf bank_mask:0xf// 00000000DF30: 0A0846FA FF015018
	v_mfma_f32_16x16x32_fp8_fp8 v[8:11], a[48:49], a[16:17], 0 // 00000000DF38: D3F30008 1A022130
	buffer_load_dword v44, s[20:23], 0 offen lds               // 00000000DF40: E0511000 8005002C
	s_add_u32 m0, 0x300, s50                                   // 00000000DF48: 807C32FF 00000300
	v_mfma_f32_16x16x32_fp8_fp8 v[8:11], a[50:51], a[18:19], v[8:11]// 00000000DF50: D3F30008 1C222532
	v_mfma_f32_16x16x32_fp8_fp8 v[8:11], a[52:53], a[20:21], v[8:11]// 00000000DF58: D3F30008 1C222934
	buffer_load_dword v45, s[20:23], 0 offen lds               // 00000000DF60: E0511000 8005002D
	s_add_u32 m0, 0x400, s50                                   // 00000000DF68: 807C32FF 00000400
	v_mfma_f32_16x16x32_fp8_fp8 v[8:11], a[54:55], a[22:23], v[8:11]// 00000000DF70: D3F30008 1C222D36
	v_fma_f32 v144, v12, v6, v144                              // 00000000DF78: D1CB0090 06420D0C
	v_fma_f32 v145, v13, v6, v145                              // 00000000DF80: D1CB0091 06460D0D
	v_fma_f32 v146, v14, v6, v146                              // 00000000DF88: D1CB0092 064A0D0E
	v_fma_f32 v147, v15, v6, v147                              // 00000000DF90: D1CB0093 064E0D0F
	v_mfma_f32_16x16x32_fp8_fp8 v[12:15], a[56:57], a[16:17], 0// 00000000DF98: D3F3000C 1A022138
	buffer_load_dword v46, s[20:23], 0 offen lds               // 00000000DFA0: E0511000 8005002E
	s_add_u32 m0, 0x500, s50                                   // 00000000DFA8: 807C32FF 00000500
	v_mfma_f32_16x16x32_fp8_fp8 v[12:15], a[58:59], a[18:19], v[12:15]// 00000000DFB0: D3F3000C 1C32253A
	v_mfma_f32_16x16x32_fp8_fp8 v[12:15], a[60:61], a[20:21], v[12:15]// 00000000DFB8: D3F3000C 1C32293C
	buffer_load_dword v47, s[20:23], 0 offen lds               // 00000000DFC0: E0511000 8005002F
	s_add_u32 m0, 0, s48                                       // 00000000DFC8: 807C3080
	v_mfma_f32_16x16x32_fp8_fp8 v[12:15], a[62:63], a[22:23], v[12:15]// 00000000DFCC: D3F3000C 1C322D3E
	v_fma_f32 v64, v8, v4, v64                                 // 00000000DFD4: D1CB0040 05020908
	v_fma_f32 v65, v9, v4, v65                                 // 00000000DFDC: D1CB0041 05060909
	v_fma_f32 v66, v10, v4, v66                                // 00000000DFE4: D1CB0042 050A090A
	v_fma_f32 v67, v11, v4, v67                                // 00000000DFEC: D1CB0043 050E090B
	v_mul_f32_dpp v6, v24, v35 row_newbcast:1 row_mask:0xf bank_mask:0xf// 00000000DFF4: 0A0C46FA FF015118
	v_mfma_f32_16x16x32_fp8_fp8 v[8:11], a[64:65], a[16:17], 0 // 00000000DFFC: D3F30008 1A022140
	buffer_load_dword v39, v30, s[28:31], 0 offen              // 00000000E004: E0501000 8007271E
	v_mfma_f32_16x16x32_fp8_fp8 v[8:11], a[66:67], a[18:19], v[8:11]// 00000000E00C: D3F30008 1C222542
	v_mfma_f32_16x16x32_fp8_fp8 v[8:11], a[68:69], a[20:21], v[8:11]// 00000000E014: D3F30008 1C222944
	buffer_load_dword v40, v31, s[28:31], 0 offen              // 00000000E01C: E0501000 8007281F
	v_mfma_f32_16x16x32_fp8_fp8 v[8:11], a[70:71], a[22:23], v[8:11]// 00000000E024: D3F30008 1C222D46
	v_fma_f32 v76, v12, v4, v76                                // 00000000E02C: D1CB004C 0532090C
	v_fma_f32 v77, v13, v4, v77                                // 00000000E034: D1CB004D 0536090D
	v_fma_f32 v78, v14, v4, v78                                // 00000000E03C: D1CB004E 053A090E
	v_fma_f32 v79, v15, v4, v79                                // 00000000E044: D1CB004F 053E090F
	v_mfma_f32_16x16x32_fp8_fp8 v[12:15], a[72:73], a[16:17], 0// 00000000E04C: D3F3000C 1A022148
	buffer_load_dword v41, v32, s[28:31], 0 offen              // 00000000E054: E0501000 80072920
	v_mfma_f32_16x16x32_fp8_fp8 v[12:15], a[74:75], a[18:19], v[12:15]// 00000000E05C: D3F3000C 1C32254A
	v_mfma_f32_16x16x32_fp8_fp8 v[12:15], a[76:77], a[20:21], v[12:15]// 00000000E064: D3F3000C 1C32294C
	v_mfma_f32_16x16x32_fp8_fp8 v[12:15], a[78:79], a[22:23], v[12:15]// 00000000E06C: D3F3000C 1C322D4E
	v_fma_f32 v88, v8, v6, v88                                 // 00000000E074: D1CB0058 05620D08
	v_fma_f32 v89, v9, v6, v89                                 // 00000000E07C: D1CB0059 05660D09
	v_fma_f32 v90, v10, v6, v90                                // 00000000E084: D1CB005A 056A0D0A
	v_fma_f32 v91, v11, v6, v91                                // 00000000E08C: D1CB005B 056E0D0B
	v_mul_f32_dpp v4, v24, v35 row_newbcast:2 row_mask:0xf bank_mask:0xf// 00000000E094: 0A0846FA FF015218
	v_mfma_f32_16x16x32_fp8_fp8 v[8:11], a[80:81], a[16:17], 0 // 00000000E09C: D3F30008 1A022150
	v_mfma_f32_16x16x32_fp8_fp8 v[8:11], a[82:83], a[18:19], v[8:11]// 00000000E0A4: D3F30008 1C222552
	v_mfma_f32_16x16x32_fp8_fp8 v[8:11], a[84:85], a[20:21], v[8:11]// 00000000E0AC: D3F30008 1C222954
	v_mfma_f32_16x16x32_fp8_fp8 v[8:11], a[86:87], a[22:23], v[8:11]// 00000000E0B4: D3F30008 1C222D56
	v_fma_f32 v100, v12, v6, v100                              // 00000000E0BC: D1CB0064 05920D0C
	v_fma_f32 v101, v13, v6, v101                              // 00000000E0C4: D1CB0065 05960D0D
	v_fma_f32 v102, v14, v6, v102                              // 00000000E0CC: D1CB0066 059A0D0E
	v_fma_f32 v103, v15, v6, v103                              // 00000000E0D4: D1CB0067 059E0D0F
	v_mfma_f32_16x16x32_fp8_fp8 v[12:15], a[88:89], a[16:17], 0// 00000000E0DC: D3F3000C 1A022158
	v_mfma_f32_16x16x32_fp8_fp8 v[12:15], a[90:91], a[18:19], v[12:15]// 00000000E0E4: D3F3000C 1C32255A
	v_mfma_f32_16x16x32_fp8_fp8 v[12:15], a[92:93], a[20:21], v[12:15]// 00000000E0EC: D3F3000C 1C32295C
	v_mfma_f32_16x16x32_fp8_fp8 v[12:15], a[94:95], a[22:23], v[12:15]// 00000000E0F4: D3F3000C 1C322D5E
	v_fma_f32 v112, v8, v4, v112                               // 00000000E0FC: D1CB0070 05C20908
	v_fma_f32 v113, v9, v4, v113                               // 00000000E104: D1CB0071 05C60909
	v_fma_f32 v114, v10, v4, v114                              // 00000000E10C: D1CB0072 05CA090A
	v_fma_f32 v115, v11, v4, v115                              // 00000000E114: D1CB0073 05CE090B
	v_mul_f32_dpp v6, v24, v35 row_newbcast:3 row_mask:0xf bank_mask:0xf// 00000000E11C: 0A0C46FA FF015318
	v_mfma_f32_16x16x32_fp8_fp8 v[8:11], a[96:97], a[16:17], 0 // 00000000E124: D3F30008 1A022160
	v_mfma_f32_16x16x32_fp8_fp8 v[8:11], a[98:99], a[18:19], v[8:11]// 00000000E12C: D3F30008 1C222562
	v_mfma_f32_16x16x32_fp8_fp8 v[8:11], a[100:101], a[20:21], v[8:11]// 00000000E134: D3F30008 1C222964
	v_mfma_f32_16x16x32_fp8_fp8 v[8:11], a[102:103], a[22:23], v[8:11]// 00000000E13C: D3F30008 1C222D66
	v_fma_f32 v124, v12, v4, v124                              // 00000000E144: D1CB007C 05F2090C
	v_fma_f32 v125, v13, v4, v125                              // 00000000E14C: D1CB007D 05F6090D
	v_fma_f32 v126, v14, v4, v126                              // 00000000E154: D1CB007E 05FA090E
	v_fma_f32 v127, v15, v4, v127                              // 00000000E15C: D1CB007F 05FE090F
	v_mfma_f32_16x16x32_fp8_fp8 v[12:15], a[104:105], a[16:17], 0// 00000000E164: D3F3000C 1A022168
	v_mfma_f32_16x16x32_fp8_fp8 v[12:15], a[106:107], a[18:19], v[12:15]// 00000000E16C: D3F3000C 1C32256A
	v_mfma_f32_16x16x32_fp8_fp8 v[12:15], a[108:109], a[20:21], v[12:15]// 00000000E174: D3F3000C 1C32296C
	v_mfma_f32_16x16x32_fp8_fp8 v[12:15], a[110:111], a[22:23], v[12:15]// 00000000E17C: D3F3000C 1C322D6E
	v_fma_f32 v136, v8, v6, v136                               // 00000000E184: D1CB0088 06220D08
	v_fma_f32 v137, v9, v6, v137                               // 00000000E18C: D1CB0089 06260D09
	v_fma_f32 v138, v10, v6, v138                              // 00000000E194: D1CB008A 062A0D0A
	v_fma_f32 v139, v11, v6, v139                              // 00000000E19C: D1CB008B 062E0D0B
	v_fma_f32 v148, v12, v6, v148                              // 00000000E1A4: D1CB0094 06520D0C
	v_fma_f32 v149, v13, v6, v149                              // 00000000E1AC: D1CB0095 06560D0D
	v_fma_f32 v150, v14, v6, v150                              // 00000000E1B4: D1CB0096 065A0D0E
	v_fma_f32 v151, v15, v6, v151                              // 00000000E1BC: D1CB0097 065E0D0F
	s_waitcnt vmcnt(26)                                        // 00000000E1C4: BF8C4F7A
	s_barrier                                                  // 00000000E1C8: BF8A0000
	v_mul_f32_dpp v4, v27, v33 row_newbcast:0 row_mask:0xf bank_mask:0xf// 00000000E1CC: 0A0842FA FF01501B
	v_mfma_f32_16x16x32_fp8_fp8 v[8:11], a[112:113], a[0:1], 0 // 00000000E1D4: D3F30008 1A020170
	buffer_load_dword v28, v23, s[32:35], 0 offen              // 00000000E1DC: E0501000 80081C17
	buffer_load_dwordx4 a[48:51], v48, s[84:87], 0 offen       // 00000000E1E4: E05C1000 80953030
	v_mfma_f32_16x16x32_fp8_fp8 v[8:11], a[114:115], a[2:3], v[8:11]// 00000000E1EC: D3F30008 1C220572
	v_mfma_f32_16x16x32_fp8_fp8 v[8:11], a[116:117], a[4:5], v[8:11]// 00000000E1F4: D3F30008 1C220974
	ds_read_b128 a[24:27], v2 offset:6272                      // 00000000E1FC: DBFE1880 18000002
	ds_read_b128 a[28:31], v2 offset:6336                      // 00000000E204: DBFE18C0 1C000002
	v_mfma_f32_16x16x32_fp8_fp8 v[8:11], a[118:119], a[6:7], v[8:11]// 00000000E20C: D3F30008 1C220D76
	v_mfma_f32_16x16x32_fp8_fp8 v[12:15], a[120:121], a[0:1], 0// 00000000E214: D3F3000C 1A020178
	buffer_load_dwordx4 a[52:55], v48, s[84:87], 0 offen offset:1024// 00000000E21C: E05C1400 80953430
	v_mfma_f32_16x16x32_fp8_fp8 v[12:15], a[122:123], a[2:3], v[12:15]// 00000000E224: D3F3000C 1C32057A
	v_mfma_f32_16x16x32_fp8_fp8 v[12:15], a[124:125], a[4:5], v[12:15]// 00000000E22C: D3F3000C 1C32097C
	ds_read_b128 a[32:35], v2 offset:6784                      // 00000000E234: DBFE1A80 20000002
	ds_read_b128 a[36:39], v2 offset:6848                      // 00000000E23C: DBFE1AC0 24000002
	v_mfma_f32_16x16x32_fp8_fp8 v[12:15], a[126:127], a[6:7], v[12:15]// 00000000E244: D3F3000C 1C320D7E
	v_fma_f32 v152, v8, v4, v152                               // 00000000E24C: D1CB0098 06620908
	v_fma_f32 v153, v9, v4, v153                               // 00000000E254: D1CB0099 06660909
	v_fma_f32 v154, v10, v4, v154                              // 00000000E25C: D1CB009A 066A090A
	v_fma_f32 v155, v11, v4, v155                              // 00000000E264: D1CB009B 066E090B
	v_mul_f32_dpp v6, v27, v33 row_newbcast:1 row_mask:0xf bank_mask:0xf// 00000000E26C: 0A0C42FA FF01511B
	v_mfma_f32_16x16x32_fp8_fp8 v[8:11], a[128:129], a[0:1], 0 // 00000000E274: D3F30008 1A020180
	buffer_load_dwordx4 a[56:59], v49, s[84:87], 0 offen       // 00000000E27C: E05C1000 80953831
	v_mfma_f32_16x16x32_fp8_fp8 v[8:11], a[130:131], a[2:3], v[8:11]// 00000000E284: D3F30008 1C220582
	v_mfma_f32_16x16x32_fp8_fp8 v[8:11], a[132:133], a[4:5], v[8:11]// 00000000E28C: D3F30008 1C220984
	ds_read_b128 a[40:43], v2 offset:7296                      // 00000000E294: DBFE1C80 28000002
	ds_read_b128 a[44:47], v2 offset:7360                      // 00000000E29C: DBFE1CC0 2C000002
	v_mfma_f32_16x16x32_fp8_fp8 v[8:11], a[134:135], a[6:7], v[8:11]// 00000000E2A4: D3F30008 1C220D86
	v_fma_f32 v164, v12, v4, v164                              // 00000000E2AC: D1CB00A4 0692090C
	v_fma_f32 v165, v13, v4, v165                              // 00000000E2B4: D1CB00A5 0696090D
	v_fma_f32 v166, v14, v4, v166                              // 00000000E2BC: D1CB00A6 069A090E
	v_fma_f32 v167, v15, v4, v167                              // 00000000E2C4: D1CB00A7 069E090F
	v_mfma_f32_16x16x32_fp8_fp8 v[12:15], a[136:137], a[0:1], 0// 00000000E2CC: D3F3000C 1A020188
	buffer_load_dwordx4 a[60:63], v49, s[84:87], 0 offen offset:1024// 00000000E2D4: E05C1400 80953C31
	v_mfma_f32_16x16x32_fp8_fp8 v[12:15], a[138:139], a[2:3], v[12:15]// 00000000E2DC: D3F3000C 1C32058A
	v_mfma_f32_16x16x32_fp8_fp8 v[12:15], a[140:141], a[4:5], v[12:15]// 00000000E2E4: D3F3000C 1C32098C
	v_mfma_f32_16x16x32_fp8_fp8 v[12:15], a[142:143], a[6:7], v[12:15]// 00000000E2EC: D3F3000C 1C320D8E
	v_fma_f32 v176, v8, v6, v176                               // 00000000E2F4: D1CB00B0 06C20D08
	v_fma_f32 v177, v9, v6, v177                               // 00000000E2FC: D1CB00B1 06C60D09
	v_fma_f32 v178, v10, v6, v178                              // 00000000E304: D1CB00B2 06CA0D0A
	v_fma_f32 v179, v11, v6, v179                              // 00000000E30C: D1CB00B3 06CE0D0B
	v_mul_f32_dpp v4, v27, v33 row_newbcast:2 row_mask:0xf bank_mask:0xf// 00000000E314: 0A0842FA FF01521B
	v_mfma_f32_16x16x32_fp8_fp8 v[8:11], a[144:145], a[0:1], 0 // 00000000E31C: D3F30008 1A020190
	buffer_load_dwordx4 a[64:67], v50, s[84:87], 0 offen       // 00000000E324: E05C1000 80954032
	v_mfma_f32_16x16x32_fp8_fp8 v[8:11], a[146:147], a[2:3], v[8:11]// 00000000E32C: D3F30008 1C220592
	v_mfma_f32_16x16x32_fp8_fp8 v[8:11], a[148:149], a[4:5], v[8:11]// 00000000E334: D3F30008 1C220994
	v_mfma_f32_16x16x32_fp8_fp8 v[8:11], a[150:151], a[6:7], v[8:11]// 00000000E33C: D3F30008 1C220D96
	v_fma_f32 v188, v12, v6, v188                              // 00000000E344: D1CB00BC 06F20D0C
	v_fma_f32 v189, v13, v6, v189                              // 00000000E34C: D1CB00BD 06F60D0D
	v_fma_f32 v190, v14, v6, v190                              // 00000000E354: D1CB00BE 06FA0D0E
	v_fma_f32 v191, v15, v6, v191                              // 00000000E35C: D1CB00BF 06FE0D0F
	v_mfma_f32_16x16x32_fp8_fp8 v[12:15], a[152:153], a[0:1], 0// 00000000E364: D3F3000C 1A020198
	buffer_load_dwordx4 a[68:71], v50, s[84:87], 0 offen offset:1024// 00000000E36C: E05C1400 80954432
	v_mfma_f32_16x16x32_fp8_fp8 v[12:15], a[154:155], a[2:3], v[12:15]// 00000000E374: D3F3000C 1C32059A
	v_mfma_f32_16x16x32_fp8_fp8 v[12:15], a[156:157], a[4:5], v[12:15]// 00000000E37C: D3F3000C 1C32099C
	v_mfma_f32_16x16x32_fp8_fp8 v[12:15], a[158:159], a[6:7], v[12:15]// 00000000E384: D3F3000C 1C320D9E
	v_fma_f32 v200, v8, v4, v200                               // 00000000E38C: D1CB00C8 07220908
	v_fma_f32 v201, v9, v4, v201                               // 00000000E394: D1CB00C9 07260909
	v_fma_f32 v202, v10, v4, v202                              // 00000000E39C: D1CB00CA 072A090A
	v_fma_f32 v203, v11, v4, v203                              // 00000000E3A4: D1CB00CB 072E090B
	v_mul_f32_dpp v6, v27, v33 row_newbcast:3 row_mask:0xf bank_mask:0xf// 00000000E3AC: 0A0C42FA FF01531B
	v_mfma_f32_16x16x32_fp8_fp8 v[8:11], a[160:161], a[0:1], 0 // 00000000E3B4: D3F30008 1A0201A0
	buffer_load_dwordx4 a[72:75], v51, s[84:87], 0 offen       // 00000000E3BC: E05C1000 80954833
	v_mfma_f32_16x16x32_fp8_fp8 v[8:11], a[162:163], a[2:3], v[8:11]// 00000000E3C4: D3F30008 1C2205A2
	v_mfma_f32_16x16x32_fp8_fp8 v[8:11], a[164:165], a[4:5], v[8:11]// 00000000E3CC: D3F30008 1C2209A4
	v_mfma_f32_16x16x32_fp8_fp8 v[8:11], a[166:167], a[6:7], v[8:11]// 00000000E3D4: D3F30008 1C220DA6
	v_fma_f32 v212, v12, v4, v212                              // 00000000E3DC: D1CB00D4 0752090C
	v_fma_f32 v213, v13, v4, v213                              // 00000000E3E4: D1CB00D5 0756090D
	v_fma_f32 v214, v14, v4, v214                              // 00000000E3EC: D1CB00D6 075A090E
	v_fma_f32 v215, v15, v4, v215                              // 00000000E3F4: D1CB00D7 075E090F
	v_mfma_f32_16x16x32_fp8_fp8 v[12:15], a[168:169], a[0:1], 0// 00000000E3FC: D3F3000C 1A0201A8
	buffer_load_dwordx4 a[76:79], v51, s[84:87], 0 offen offset:1024// 00000000E404: E05C1400 80954C33
	v_mfma_f32_16x16x32_fp8_fp8 v[12:15], a[170:171], a[2:3], v[12:15]// 00000000E40C: D3F3000C 1C3205AA
	v_mfma_f32_16x16x32_fp8_fp8 v[12:15], a[172:173], a[4:5], v[12:15]// 00000000E414: D3F3000C 1C3209AC
	v_mfma_f32_16x16x32_fp8_fp8 v[12:15], a[174:175], a[6:7], v[12:15]// 00000000E41C: D3F3000C 1C320DAE
	v_fma_f32 v224, v8, v6, v224                               // 00000000E424: D1CB00E0 07820D08
	v_fma_f32 v225, v9, v6, v225                               // 00000000E42C: D1CB00E1 07860D09
	v_fma_f32 v226, v10, v6, v226                              // 00000000E434: D1CB00E2 078A0D0A
	v_fma_f32 v227, v11, v6, v227                              // 00000000E43C: D1CB00E3 078E0D0B
	v_mul_f32_dpp v4, v27, v34 row_newbcast:0 row_mask:0xf bank_mask:0xf// 00000000E444: 0A0844FA FF01501B
	v_mfma_f32_16x16x32_fp8_fp8 v[8:11], a[112:113], a[8:9], 0 // 00000000E44C: D3F30008 1A021170
	buffer_load_dwordx4 a[80:83], v52, s[84:87], 0 offen       // 00000000E454: E05C1000 80955034
	v_mfma_f32_16x16x32_fp8_fp8 v[8:11], a[114:115], a[10:11], v[8:11]// 00000000E45C: D3F30008 1C221572
	v_mfma_f32_16x16x32_fp8_fp8 v[8:11], a[116:117], a[12:13], v[8:11]// 00000000E464: D3F30008 1C221974
	v_mfma_f32_16x16x32_fp8_fp8 v[8:11], a[118:119], a[14:15], v[8:11]// 00000000E46C: D3F30008 1C221D76
	v_fma_f32 v236, v12, v6, v236                              // 00000000E474: D1CB00EC 07B20D0C
	v_fma_f32 v237, v13, v6, v237                              // 00000000E47C: D1CB00ED 07B60D0D
	v_fma_f32 v238, v14, v6, v238                              // 00000000E484: D1CB00EE 07BA0D0E
	v_fma_f32 v239, v15, v6, v239                              // 00000000E48C: D1CB00EF 07BE0D0F
	v_mfma_f32_16x16x32_fp8_fp8 v[12:15], a[120:121], a[8:9], 0// 00000000E494: D3F3000C 1A021178
	buffer_load_dwordx4 a[84:87], v52, s[84:87], 0 offen offset:1024// 00000000E49C: E05C1400 80955434
	v_mfma_f32_16x16x32_fp8_fp8 v[12:15], a[122:123], a[10:11], v[12:15]// 00000000E4A4: D3F3000C 1C32157A
	v_mfma_f32_16x16x32_fp8_fp8 v[12:15], a[124:125], a[12:13], v[12:15]// 00000000E4AC: D3F3000C 1C32197C
	v_mfma_f32_16x16x32_fp8_fp8 v[12:15], a[126:127], a[14:15], v[12:15]// 00000000E4B4: D3F3000C 1C321D7E
	v_fma_f32 v156, v8, v4, v156                               // 00000000E4BC: D1CB009C 06720908
	v_fma_f32 v157, v9, v4, v157                               // 00000000E4C4: D1CB009D 06760909
	v_fma_f32 v158, v10, v4, v158                              // 00000000E4CC: D1CB009E 067A090A
	v_fma_f32 v159, v11, v4, v159                              // 00000000E4D4: D1CB009F 067E090B
	v_mul_f32_dpp v6, v27, v34 row_newbcast:1 row_mask:0xf bank_mask:0xf// 00000000E4DC: 0A0C44FA FF01511B
	v_mfma_f32_16x16x32_fp8_fp8 v[8:11], a[128:129], a[8:9], 0 // 00000000E4E4: D3F30008 1A021180
	buffer_load_dwordx4 a[88:91], v53, s[84:87], 0 offen       // 00000000E4EC: E05C1000 80955835
	v_mfma_f32_16x16x32_fp8_fp8 v[8:11], a[130:131], a[10:11], v[8:11]// 00000000E4F4: D3F30008 1C221582
	v_mfma_f32_16x16x32_fp8_fp8 v[8:11], a[132:133], a[12:13], v[8:11]// 00000000E4FC: D3F30008 1C221984
	v_mfma_f32_16x16x32_fp8_fp8 v[8:11], a[134:135], a[14:15], v[8:11]// 00000000E504: D3F30008 1C221D86
	v_fma_f32 v168, v12, v4, v168                              // 00000000E50C: D1CB00A8 06A2090C
	v_fma_f32 v169, v13, v4, v169                              // 00000000E514: D1CB00A9 06A6090D
	v_fma_f32 v170, v14, v4, v170                              // 00000000E51C: D1CB00AA 06AA090E
	v_fma_f32 v171, v15, v4, v171                              // 00000000E524: D1CB00AB 06AE090F
	v_mfma_f32_16x16x32_fp8_fp8 v[12:15], a[136:137], a[8:9], 0// 00000000E52C: D3F3000C 1A021188
	buffer_load_dwordx4 a[92:95], v53, s[84:87], 0 offen offset:1024// 00000000E534: E05C1400 80955C35
	v_mfma_f32_16x16x32_fp8_fp8 v[12:15], a[138:139], a[10:11], v[12:15]// 00000000E53C: D3F3000C 1C32158A
	v_mfma_f32_16x16x32_fp8_fp8 v[12:15], a[140:141], a[12:13], v[12:15]// 00000000E544: D3F3000C 1C32198C
	v_mfma_f32_16x16x32_fp8_fp8 v[12:15], a[142:143], a[14:15], v[12:15]// 00000000E54C: D3F3000C 1C321D8E
	v_fma_f32 v180, v8, v6, v180                               // 00000000E554: D1CB00B4 06D20D08
	v_fma_f32 v181, v9, v6, v181                               // 00000000E55C: D1CB00B5 06D60D09
	v_fma_f32 v182, v10, v6, v182                              // 00000000E564: D1CB00B6 06DA0D0A
	v_fma_f32 v183, v11, v6, v183                              // 00000000E56C: D1CB00B7 06DE0D0B
	v_mul_f32_dpp v4, v27, v34 row_newbcast:2 row_mask:0xf bank_mask:0xf// 00000000E574: 0A0844FA FF01521B
	v_mfma_f32_16x16x32_fp8_fp8 v[8:11], a[144:145], a[8:9], 0 // 00000000E57C: D3F30008 1A021190
	buffer_load_dwordx4 a[96:99], v54, s[84:87], 0 offen       // 00000000E584: E05C1000 80956036
	v_mfma_f32_16x16x32_fp8_fp8 v[8:11], a[146:147], a[10:11], v[8:11]// 00000000E58C: D3F30008 1C221592
	v_mfma_f32_16x16x32_fp8_fp8 v[8:11], a[148:149], a[12:13], v[8:11]// 00000000E594: D3F30008 1C221994
	v_mfma_f32_16x16x32_fp8_fp8 v[8:11], a[150:151], a[14:15], v[8:11]// 00000000E59C: D3F30008 1C221D96
	v_fma_f32 v192, v12, v6, v192                              // 00000000E5A4: D1CB00C0 07020D0C
	v_fma_f32 v193, v13, v6, v193                              // 00000000E5AC: D1CB00C1 07060D0D
	v_fma_f32 v194, v14, v6, v194                              // 00000000E5B4: D1CB00C2 070A0D0E
	v_fma_f32 v195, v15, v6, v195                              // 00000000E5BC: D1CB00C3 070E0D0F
	v_mfma_f32_16x16x32_fp8_fp8 v[12:15], a[152:153], a[8:9], 0// 00000000E5C4: D3F3000C 1A021198
	buffer_load_dwordx4 a[100:103], v54, s[84:87], 0 offen offset:1024// 00000000E5CC: E05C1400 80956436
	v_mfma_f32_16x16x32_fp8_fp8 v[12:15], a[154:155], a[10:11], v[12:15]// 00000000E5D4: D3F3000C 1C32159A
	v_mfma_f32_16x16x32_fp8_fp8 v[12:15], a[156:157], a[12:13], v[12:15]// 00000000E5DC: D3F3000C 1C32199C
	v_mfma_f32_16x16x32_fp8_fp8 v[12:15], a[158:159], a[14:15], v[12:15]// 00000000E5E4: D3F3000C 1C321D9E
	v_fma_f32 v204, v8, v4, v204                               // 00000000E5EC: D1CB00CC 07320908
	v_fma_f32 v205, v9, v4, v205                               // 00000000E5F4: D1CB00CD 07360909
	v_fma_f32 v206, v10, v4, v206                              // 00000000E5FC: D1CB00CE 073A090A
	v_fma_f32 v207, v11, v4, v207                              // 00000000E604: D1CB00CF 073E090B
	v_mul_f32_dpp v6, v27, v34 row_newbcast:3 row_mask:0xf bank_mask:0xf// 00000000E60C: 0A0C44FA FF01531B
	v_mfma_f32_16x16x32_fp8_fp8 v[8:11], a[160:161], a[8:9], 0 // 00000000E614: D3F30008 1A0211A0
	buffer_load_dwordx4 a[104:107], v55, s[84:87], 0 offen     // 00000000E61C: E05C1000 80956837
	v_mfma_f32_16x16x32_fp8_fp8 v[8:11], a[162:163], a[10:11], v[8:11]// 00000000E624: D3F30008 1C2215A2
	v_mfma_f32_16x16x32_fp8_fp8 v[8:11], a[164:165], a[12:13], v[8:11]// 00000000E62C: D3F30008 1C2219A4
	v_mfma_f32_16x16x32_fp8_fp8 v[8:11], a[166:167], a[14:15], v[8:11]// 00000000E634: D3F30008 1C221DA6
	v_fma_f32 v216, v12, v4, v216                              // 00000000E63C: D1CB00D8 0762090C
	v_fma_f32 v217, v13, v4, v217                              // 00000000E644: D1CB00D9 0766090D
	v_fma_f32 v218, v14, v4, v218                              // 00000000E64C: D1CB00DA 076A090E
	v_fma_f32 v219, v15, v4, v219                              // 00000000E654: D1CB00DB 076E090F
	v_mfma_f32_16x16x32_fp8_fp8 v[12:15], a[168:169], a[8:9], 0// 00000000E65C: D3F3000C 1A0211A8
	buffer_load_dwordx4 a[108:111], v55, s[84:87], 0 offen offset:1024// 00000000E664: E05C1400 80956C37
	v_mfma_f32_16x16x32_fp8_fp8 v[12:15], a[170:171], a[10:11], v[12:15]// 00000000E66C: D3F3000C 1C3215AA
	v_mfma_f32_16x16x32_fp8_fp8 v[12:15], a[172:173], a[12:13], v[12:15]// 00000000E674: D3F3000C 1C3219AC
	v_mfma_f32_16x16x32_fp8_fp8 v[12:15], a[174:175], a[14:15], v[12:15]// 00000000E67C: D3F3000C 1C321DAE
	v_fma_f32 v228, v8, v6, v228                               // 00000000E684: D1CB00E4 07920D08
	v_fma_f32 v229, v9, v6, v229                               // 00000000E68C: D1CB00E5 07960D09
	v_fma_f32 v230, v10, v6, v230                              // 00000000E694: D1CB00E6 079A0D0A
	v_fma_f32 v231, v11, v6, v231                              // 00000000E69C: D1CB00E7 079E0D0B
	v_mul_f32_dpp v4, v27, v35 row_newbcast:0 row_mask:0xf bank_mask:0xf// 00000000E6A4: 0A0846FA FF01501B
	v_mfma_f32_16x16x32_fp8_fp8 v[8:11], a[112:113], a[16:17], 0// 00000000E6AC: D3F30008 1A022170
	v_mfma_f32_16x16x32_fp8_fp8 v[8:11], a[114:115], a[18:19], v[8:11]// 00000000E6B4: D3F30008 1C222572
	v_mfma_f32_16x16x32_fp8_fp8 v[8:11], a[116:117], a[20:21], v[8:11]// 00000000E6BC: D3F30008 1C222974
	v_mfma_f32_16x16x32_fp8_fp8 v[8:11], a[118:119], a[22:23], v[8:11]// 00000000E6C4: D3F30008 1C222D76
	v_fma_f32 v240, v12, v6, v240                              // 00000000E6CC: D1CB00F0 07C20D0C
	v_fma_f32 v241, v13, v6, v241                              // 00000000E6D4: D1CB00F1 07C60D0D
	v_fma_f32 v242, v14, v6, v242                              // 00000000E6DC: D1CB00F2 07CA0D0E
	v_fma_f32 v243, v15, v6, v243                              // 00000000E6E4: D1CB00F3 07CE0D0F
	v_mfma_f32_16x16x32_fp8_fp8 v[12:15], a[120:121], a[16:17], 0// 00000000E6EC: D3F3000C 1A022178
	v_mfma_f32_16x16x32_fp8_fp8 v[12:15], a[122:123], a[18:19], v[12:15]// 00000000E6F4: D3F3000C 1C32257A
	v_mfma_f32_16x16x32_fp8_fp8 v[12:15], a[124:125], a[20:21], v[12:15]// 00000000E6FC: D3F3000C 1C32297C
	v_mfma_f32_16x16x32_fp8_fp8 v[12:15], a[126:127], a[22:23], v[12:15]// 00000000E704: D3F3000C 1C322D7E
	v_fma_f32 v160, v8, v4, v160                               // 00000000E70C: D1CB00A0 06820908
	v_fma_f32 v161, v9, v4, v161                               // 00000000E714: D1CB00A1 06860909
	v_fma_f32 v162, v10, v4, v162                              // 00000000E71C: D1CB00A2 068A090A
	v_fma_f32 v163, v11, v4, v163                              // 00000000E724: D1CB00A3 068E090B
	v_mul_f32_dpp v6, v27, v35 row_newbcast:1 row_mask:0xf bank_mask:0xf// 00000000E72C: 0A0C46FA FF01511B
	v_mfma_f32_16x16x32_fp8_fp8 v[8:11], a[128:129], a[16:17], 0// 00000000E734: D3F30008 1A022180
	v_mfma_f32_16x16x32_fp8_fp8 v[8:11], a[130:131], a[18:19], v[8:11]// 00000000E73C: D3F30008 1C222582
	v_mfma_f32_16x16x32_fp8_fp8 v[8:11], a[132:133], a[20:21], v[8:11]// 00000000E744: D3F30008 1C222984
	v_mfma_f32_16x16x32_fp8_fp8 v[8:11], a[134:135], a[22:23], v[8:11]// 00000000E74C: D3F30008 1C222D86
	v_fma_f32 v172, v12, v4, v172                              // 00000000E754: D1CB00AC 06B2090C
	v_fma_f32 v173, v13, v4, v173                              // 00000000E75C: D1CB00AD 06B6090D
	v_fma_f32 v174, v14, v4, v174                              // 00000000E764: D1CB00AE 06BA090E
	v_fma_f32 v175, v15, v4, v175                              // 00000000E76C: D1CB00AF 06BE090F
	v_mfma_f32_16x16x32_fp8_fp8 v[12:15], a[136:137], a[16:17], 0// 00000000E774: D3F3000C 1A022188
	v_mfma_f32_16x16x32_fp8_fp8 v[12:15], a[138:139], a[18:19], v[12:15]// 00000000E77C: D3F3000C 1C32258A
	v_mfma_f32_16x16x32_fp8_fp8 v[12:15], a[140:141], a[20:21], v[12:15]// 00000000E784: D3F3000C 1C32298C
	v_mfma_f32_16x16x32_fp8_fp8 v[12:15], a[142:143], a[22:23], v[12:15]// 00000000E78C: D3F3000C 1C322D8E
	v_fma_f32 v184, v8, v6, v184                               // 00000000E794: D1CB00B8 06E20D08
	v_fma_f32 v185, v9, v6, v185                               // 00000000E79C: D1CB00B9 06E60D09
	v_fma_f32 v186, v10, v6, v186                              // 00000000E7A4: D1CB00BA 06EA0D0A
	v_fma_f32 v187, v11, v6, v187                              // 00000000E7AC: D1CB00BB 06EE0D0B
	v_mul_f32_dpp v4, v27, v35 row_newbcast:2 row_mask:0xf bank_mask:0xf// 00000000E7B4: 0A0846FA FF01521B
	v_mfma_f32_16x16x32_fp8_fp8 v[8:11], a[144:145], a[16:17], 0// 00000000E7BC: D3F30008 1A022190
	v_mfma_f32_16x16x32_fp8_fp8 v[8:11], a[146:147], a[18:19], v[8:11]// 00000000E7C4: D3F30008 1C222592
	v_mfma_f32_16x16x32_fp8_fp8 v[8:11], a[148:149], a[20:21], v[8:11]// 00000000E7CC: D3F30008 1C222994
	v_mfma_f32_16x16x32_fp8_fp8 v[8:11], a[150:151], a[22:23], v[8:11]// 00000000E7D4: D3F30008 1C222D96
	v_fma_f32 v196, v12, v6, v196                              // 00000000E7DC: D1CB00C4 07120D0C
	v_fma_f32 v197, v13, v6, v197                              // 00000000E7E4: D1CB00C5 07160D0D
	v_fma_f32 v198, v14, v6, v198                              // 00000000E7EC: D1CB00C6 071A0D0E
	v_fma_f32 v199, v15, v6, v199                              // 00000000E7F4: D1CB00C7 071E0D0F
	v_mfma_f32_16x16x32_fp8_fp8 v[12:15], a[152:153], a[16:17], 0// 00000000E7FC: D3F3000C 1A022198
	v_mfma_f32_16x16x32_fp8_fp8 v[12:15], a[154:155], a[18:19], v[12:15]// 00000000E804: D3F3000C 1C32259A
	v_mfma_f32_16x16x32_fp8_fp8 v[12:15], a[156:157], a[20:21], v[12:15]// 00000000E80C: D3F3000C 1C32299C
	v_mfma_f32_16x16x32_fp8_fp8 v[12:15], a[158:159], a[22:23], v[12:15]// 00000000E814: D3F3000C 1C322D9E
	v_fma_f32 v208, v8, v4, v208                               // 00000000E81C: D1CB00D0 07420908
	v_fma_f32 v209, v9, v4, v209                               // 00000000E824: D1CB00D1 07460909
	v_fma_f32 v210, v10, v4, v210                              // 00000000E82C: D1CB00D2 074A090A
	v_fma_f32 v211, v11, v4, v211                              // 00000000E834: D1CB00D3 074E090B
	v_mul_f32_dpp v6, v27, v35 row_newbcast:3 row_mask:0xf bank_mask:0xf// 00000000E83C: 0A0C46FA FF01531B
	v_mfma_f32_16x16x32_fp8_fp8 v[8:11], a[160:161], a[16:17], 0// 00000000E844: D3F30008 1A0221A0
	s_add_u32 s60, 0x180, s80                                  // 00000000E84C: 803C50FF 00000180
	s_cmp_lt_u32 s60, s81                                      // 00000000E854: BF0A513C
	s_cselect_b32 s57, s57, 0                                  // 00000000E858: 85398039
	s_cselect_b32 s3, s3, 0                                    // 00000000E85C: 85038003
	v_mfma_f32_16x16x32_fp8_fp8 v[8:11], a[162:163], a[18:19], v[8:11]// 00000000E860: D3F30008 1C2225A2
	s_add_u32 s60, 0x100, s80                                  // 00000000E868: 803C50FF 00000100
	s_cmp_lt_u32 s60, s81                                      // 00000000E870: BF0A513C
	s_cselect_b32 s58, s58, 0                                  // 00000000E874: 853A803A
	v_mfma_f32_16x16x32_fp8_fp8 v[8:11], a[164:165], a[20:21], v[8:11]// 00000000E878: D3F30008 1C2229A4
	s_add_u32 s60, 0x100, s80                                  // 00000000E880: 803C50FF 00000100
	s_cmp_lt_u32 s60, s81                                      // 00000000E888: BF0A513C
	s_cselect_b32 s83, s83, 0                                  // 00000000E88C: 85538053
	s_cselect_b32 s4, s4, 0                                    // 00000000E890: 85048004
	v_mfma_f32_16x16x32_fp8_fp8 v[8:11], a[166:167], a[22:23], v[8:11]// 00000000E894: D3F30008 1C222DA6
	s_add_u32 s24, s58, s24                                    // 00000000E89C: 8018183A
	s_addc_u32 s25, 0, s25                                     // 00000000E8A0: 82191980
	v_fma_f32 v220, v12, v4, v220                              // 00000000E8A4: D1CB00DC 0772090C
	v_fma_f32 v221, v13, v4, v221                              // 00000000E8AC: D1CB00DD 0776090D
	v_fma_f32 v222, v14, v4, v222                              // 00000000E8B4: D1CB00DE 077A090E
	v_fma_f32 v223, v15, v4, v223                              // 00000000E8BC: D1CB00DF 077E090F
	v_mfma_f32_16x16x32_fp8_fp8 v[12:15], a[168:169], a[16:17], 0// 00000000E8C4: D3F3000C 1A0221A8
	s_add_u32 s20, s57, s20                                    // 00000000E8CC: 80141439
	s_addc_u32 s21, 0, s21                                     // 00000000E8D0: 82151580
	s_add_u32 s28, s3, s28                                     // 00000000E8D4: 801C1C03
	s_addc_u32 s29, 0, s29                                     // 00000000E8D8: 821D1D80
	v_mfma_f32_16x16x32_fp8_fp8 v[12:15], a[170:171], a[18:19], v[12:15]// 00000000E8DC: D3F3000C 1C3225AA
	s_add_u32 s84, s83, s84                                    // 00000000E8E4: 80545453
	s_addc_u32 s85, 0, s85                                     // 00000000E8E8: 82555580
	v_mfma_f32_16x16x32_fp8_fp8 v[12:15], a[172:173], a[20:21], v[12:15]// 00000000E8EC: D3F3000C 1C3229AC
	s_add_u32 s32, s4, s32                                     // 00000000E8F4: 80202004
	s_addc_u32 s33, 0, s33                                     // 00000000E8F8: 82212180
	v_mfma_f32_16x16x32_fp8_fp8 v[12:15], a[174:175], a[22:23], v[12:15]// 00000000E8FC: D3F3000C 1C322DAE
	v_fma_f32 v232, v8, v6, v232                               // 00000000E904: D1CB00E8 07A20D08
	v_fma_f32 v233, v9, v6, v233                               // 00000000E90C: D1CB00E9 07A60D09
	v_fma_f32 v234, v10, v6, v234                              // 00000000E914: D1CB00EA 07AA0D0A
	v_fma_f32 v235, v11, v6, v235                              // 00000000E91C: D1CB00EB 07AE0D0B
	v_fma_f32 v244, v12, v6, v244                              // 00000000E924: D1CB00F4 07D20D0C
	v_fma_f32 v245, v13, v6, v245                              // 00000000E92C: D1CB00F5 07D60D0D
	v_fma_f32 v246, v14, v6, v246                              // 00000000E934: D1CB00F6 07DA0D0E
	v_fma_f32 v247, v15, v6, v247                              // 00000000E93C: D1CB00F7 07DE0D0F
	s_addk_i32 s80, 0x80                                       // 00000000E944: B7500080
	s_cmp_lt_i32 s80, s81                                      // 00000000E948: BF045150
	s_cbranch_scc0 label_427F                                  // 00000000E94C: BF8412A8
	s_waitcnt vmcnt(26) lgkmcnt(0)                             // 00000000E950: BF8C407A
	v_mul_f32_dpp v4, v25, v36 row_newbcast:0 row_mask:0xf bank_mask:0xf// 00000000E954: 0A0848FA FF015019
	v_mfma_f32_16x16x32_fp8_fp8 v[8:11], a[176:177], a[24:25], 0// 00000000E95C: D3F30008 1A0231B0
	buffer_load_dword v26, v22, s[32:35], 0 offen              // 00000000E964: E0501000 80081A16
	buffer_load_dwordx4 a[112:115], v48, s[24:27], 0 offen     // 00000000E96C: E05C1000 80867030
	v_mfma_f32_16x16x32_fp8_fp8 v[8:11], a[178:179], a[26:27], v[8:11]// 00000000E974: D3F30008 1C2235B2
	v_mfma_f32_16x16x32_fp8_fp8 v[8:11], a[180:181], a[28:29], v[8:11]// 00000000E97C: D3F30008 1C2239B4
	v_mfma_f32_16x16x32_fp8_fp8 v[8:11], a[182:183], a[30:31], v[8:11]// 00000000E984: D3F30008 1C223DB6
	v_mfma_f32_16x16x32_fp8_fp8 v[12:15], a[184:185], a[24:25], 0// 00000000E98C: D3F3000C 1A0231B8
	buffer_load_dwordx4 a[116:119], v48, s[24:27], 0 offen offset:1024// 00000000E994: E05C1400 80867430
	v_mfma_f32_16x16x32_fp8_fp8 v[12:15], a[186:187], a[26:27], v[12:15]// 00000000E99C: D3F3000C 1C3235BA
	v_mfma_f32_16x16x32_fp8_fp8 v[12:15], a[188:189], a[28:29], v[12:15]// 00000000E9A4: D3F3000C 1C3239BC
	v_mfma_f32_16x16x32_fp8_fp8 v[12:15], a[190:191], a[30:31], v[12:15]// 00000000E9AC: D3F3000C 1C323DBE
	v_fma_f32 v56, v8, v4, v56                                 // 00000000E9B4: D1CB0038 04E20908
	v_fma_f32 v57, v9, v4, v57                                 // 00000000E9BC: D1CB0039 04E60909
	v_fma_f32 v58, v10, v4, v58                                // 00000000E9C4: D1CB003A 04EA090A
	v_fma_f32 v59, v11, v4, v59                                // 00000000E9CC: D1CB003B 04EE090B
	v_mul_f32_dpp v6, v25, v36 row_newbcast:1 row_mask:0xf bank_mask:0xf// 00000000E9D4: 0A0C48FA FF015119
	v_mfma_f32_16x16x32_fp8_fp8 v[8:11], a[192:193], a[24:25], 0// 00000000E9DC: D3F30008 1A0231C0
	buffer_load_dwordx4 a[120:123], v49, s[24:27], 0 offen     // 00000000E9E4: E05C1000 80867831
	v_mfma_f32_16x16x32_fp8_fp8 v[8:11], a[194:195], a[26:27], v[8:11]// 00000000E9EC: D3F30008 1C2235C2
	v_mfma_f32_16x16x32_fp8_fp8 v[8:11], a[196:197], a[28:29], v[8:11]// 00000000E9F4: D3F30008 1C2239C4
	v_mfma_f32_16x16x32_fp8_fp8 v[8:11], a[198:199], a[30:31], v[8:11]// 00000000E9FC: D3F30008 1C223DC6
	v_fma_f32 v68, v12, v4, v68                                // 00000000EA04: D1CB0044 0512090C
	v_fma_f32 v69, v13, v4, v69                                // 00000000EA0C: D1CB0045 0516090D
	v_fma_f32 v70, v14, v4, v70                                // 00000000EA14: D1CB0046 051A090E
	v_fma_f32 v71, v15, v4, v71                                // 00000000EA1C: D1CB0047 051E090F
	v_mfma_f32_16x16x32_fp8_fp8 v[12:15], a[200:201], a[24:25], 0// 00000000EA24: D3F3000C 1A0231C8
	buffer_load_dwordx4 a[124:127], v49, s[24:27], 0 offen offset:1024// 00000000EA2C: E05C1400 80867C31
	v_mfma_f32_16x16x32_fp8_fp8 v[12:15], a[202:203], a[26:27], v[12:15]// 00000000EA34: D3F3000C 1C3235CA
	v_mfma_f32_16x16x32_fp8_fp8 v[12:15], a[204:205], a[28:29], v[12:15]// 00000000EA3C: D3F3000C 1C3239CC
	v_mfma_f32_16x16x32_fp8_fp8 v[12:15], a[206:207], a[30:31], v[12:15]// 00000000EA44: D3F3000C 1C323DCE
	v_fma_f32 v80, v8, v6, v80                                 // 00000000EA4C: D1CB0050 05420D08
	v_fma_f32 v81, v9, v6, v81                                 // 00000000EA54: D1CB0051 05460D09
	v_fma_f32 v82, v10, v6, v82                                // 00000000EA5C: D1CB0052 054A0D0A
	v_fma_f32 v83, v11, v6, v83                                // 00000000EA64: D1CB0053 054E0D0B
	v_mul_f32_dpp v4, v25, v36 row_newbcast:2 row_mask:0xf bank_mask:0xf// 00000000EA6C: 0A0848FA FF015219
	v_mfma_f32_16x16x32_fp8_fp8 v[8:11], a[208:209], a[24:25], 0// 00000000EA74: D3F30008 1A0231D0
	buffer_load_dwordx4 a[128:131], v50, s[24:27], 0 offen     // 00000000EA7C: E05C1000 80868032
	v_mfma_f32_16x16x32_fp8_fp8 v[8:11], a[210:211], a[26:27], v[8:11]// 00000000EA84: D3F30008 1C2235D2
	v_mfma_f32_16x16x32_fp8_fp8 v[8:11], a[212:213], a[28:29], v[8:11]// 00000000EA8C: D3F30008 1C2239D4
	v_mfma_f32_16x16x32_fp8_fp8 v[8:11], a[214:215], a[30:31], v[8:11]// 00000000EA94: D3F30008 1C223DD6
	v_fma_f32 v92, v12, v6, v92                                // 00000000EA9C: D1CB005C 05720D0C
	v_fma_f32 v93, v13, v6, v93                                // 00000000EAA4: D1CB005D 05760D0D
	v_fma_f32 v94, v14, v6, v94                                // 00000000EAAC: D1CB005E 057A0D0E
	v_fma_f32 v95, v15, v6, v95                                // 00000000EAB4: D1CB005F 057E0D0F
	v_mfma_f32_16x16x32_fp8_fp8 v[12:15], a[216:217], a[24:25], 0// 00000000EABC: D3F3000C 1A0231D8
	buffer_load_dwordx4 a[132:135], v50, s[24:27], 0 offen offset:1024// 00000000EAC4: E05C1400 80868432
	v_mfma_f32_16x16x32_fp8_fp8 v[12:15], a[218:219], a[26:27], v[12:15]// 00000000EACC: D3F3000C 1C3235DA
	v_mfma_f32_16x16x32_fp8_fp8 v[12:15], a[220:221], a[28:29], v[12:15]// 00000000EAD4: D3F3000C 1C3239DC
	v_mfma_f32_16x16x32_fp8_fp8 v[12:15], a[222:223], a[30:31], v[12:15]// 00000000EADC: D3F3000C 1C323DDE
	v_fma_f32 v104, v8, v4, v104                               // 00000000EAE4: D1CB0068 05A20908
	v_fma_f32 v105, v9, v4, v105                               // 00000000EAEC: D1CB0069 05A60909
	v_fma_f32 v106, v10, v4, v106                              // 00000000EAF4: D1CB006A 05AA090A
	v_fma_f32 v107, v11, v4, v107                              // 00000000EAFC: D1CB006B 05AE090B
	v_mul_f32_dpp v6, v25, v36 row_newbcast:3 row_mask:0xf bank_mask:0xf// 00000000EB04: 0A0C48FA FF015319
	v_mfma_f32_16x16x32_fp8_fp8 v[8:11], a[224:225], a[24:25], 0// 00000000EB0C: D3F30008 1A0231E0
	buffer_load_dwordx4 a[136:139], v51, s[24:27], 0 offen     // 00000000EB14: E05C1000 80868833
	v_mfma_f32_16x16x32_fp8_fp8 v[8:11], a[226:227], a[26:27], v[8:11]// 00000000EB1C: D3F30008 1C2235E2
	v_mfma_f32_16x16x32_fp8_fp8 v[8:11], a[228:229], a[28:29], v[8:11]// 00000000EB24: D3F30008 1C2239E4
	v_mfma_f32_16x16x32_fp8_fp8 v[8:11], a[230:231], a[30:31], v[8:11]// 00000000EB2C: D3F30008 1C223DE6
	v_fma_f32 v116, v12, v4, v116                              // 00000000EB34: D1CB0074 05D2090C
	v_fma_f32 v117, v13, v4, v117                              // 00000000EB3C: D1CB0075 05D6090D
	v_fma_f32 v118, v14, v4, v118                              // 00000000EB44: D1CB0076 05DA090E
	v_fma_f32 v119, v15, v4, v119                              // 00000000EB4C: D1CB0077 05DE090F
	v_mfma_f32_16x16x32_fp8_fp8 v[12:15], a[232:233], a[24:25], 0// 00000000EB54: D3F3000C 1A0231E8
	buffer_load_dwordx4 a[140:143], v51, s[24:27], 0 offen offset:1024// 00000000EB5C: E05C1400 80868C33
	v_mfma_f32_16x16x32_fp8_fp8 v[12:15], a[234:235], a[26:27], v[12:15]// 00000000EB64: D3F3000C 1C3235EA
	v_mfma_f32_16x16x32_fp8_fp8 v[12:15], a[236:237], a[28:29], v[12:15]// 00000000EB6C: D3F3000C 1C3239EC
	v_mfma_f32_16x16x32_fp8_fp8 v[12:15], a[238:239], a[30:31], v[12:15]// 00000000EB74: D3F3000C 1C323DEE
	v_fma_f32 v128, v8, v6, v128                               // 00000000EB7C: D1CB0080 06020D08
	v_fma_f32 v129, v9, v6, v129                               // 00000000EB84: D1CB0081 06060D09
	v_fma_f32 v130, v10, v6, v130                              // 00000000EB8C: D1CB0082 060A0D0A
	v_fma_f32 v131, v11, v6, v131                              // 00000000EB94: D1CB0083 060E0D0B
	v_mul_f32_dpp v4, v25, v37 row_newbcast:0 row_mask:0xf bank_mask:0xf// 00000000EB9C: 0A084AFA FF015019
	v_mfma_f32_16x16x32_fp8_fp8 v[8:11], a[176:177], a[32:33], 0// 00000000EBA4: D3F30008 1A0241B0
	buffer_load_dwordx4 a[144:147], v52, s[24:27], 0 offen     // 00000000EBAC: E05C1000 80869034
	v_mfma_f32_16x16x32_fp8_fp8 v[8:11], a[178:179], a[34:35], v[8:11]// 00000000EBB4: D3F30008 1C2245B2
	v_mfma_f32_16x16x32_fp8_fp8 v[8:11], a[180:181], a[36:37], v[8:11]// 00000000EBBC: D3F30008 1C2249B4
	v_mfma_f32_16x16x32_fp8_fp8 v[8:11], a[182:183], a[38:39], v[8:11]// 00000000EBC4: D3F30008 1C224DB6
	v_fma_f32 v140, v12, v6, v140                              // 00000000EBCC: D1CB008C 06320D0C
	v_fma_f32 v141, v13, v6, v141                              // 00000000EBD4: D1CB008D 06360D0D
	v_fma_f32 v142, v14, v6, v142                              // 00000000EBDC: D1CB008E 063A0D0E
	v_fma_f32 v143, v15, v6, v143                              // 00000000EBE4: D1CB008F 063E0D0F
	v_mfma_f32_16x16x32_fp8_fp8 v[12:15], a[184:185], a[32:33], 0// 00000000EBEC: D3F3000C 1A0241B8
	buffer_load_dwordx4 a[148:151], v52, s[24:27], 0 offen offset:1024// 00000000EBF4: E05C1400 80869434
	v_mfma_f32_16x16x32_fp8_fp8 v[12:15], a[186:187], a[34:35], v[12:15]// 00000000EBFC: D3F3000C 1C3245BA
	v_mfma_f32_16x16x32_fp8_fp8 v[12:15], a[188:189], a[36:37], v[12:15]// 00000000EC04: D3F3000C 1C3249BC
	v_mfma_f32_16x16x32_fp8_fp8 v[12:15], a[190:191], a[38:39], v[12:15]// 00000000EC0C: D3F3000C 1C324DBE
	v_fma_f32 v60, v8, v4, v60                                 // 00000000EC14: D1CB003C 04F20908
	v_fma_f32 v61, v9, v4, v61                                 // 00000000EC1C: D1CB003D 04F60909
	v_fma_f32 v62, v10, v4, v62                                // 00000000EC24: D1CB003E 04FA090A
	v_fma_f32 v63, v11, v4, v63                                // 00000000EC2C: D1CB003F 04FE090B
	v_mul_f32_dpp v6, v25, v37 row_newbcast:1 row_mask:0xf bank_mask:0xf// 00000000EC34: 0A0C4AFA FF015119
	v_mfma_f32_16x16x32_fp8_fp8 v[8:11], a[192:193], a[32:33], 0// 00000000EC3C: D3F30008 1A0241C0
	buffer_load_dwordx4 a[152:155], v53, s[24:27], 0 offen     // 00000000EC44: E05C1000 80869835
	v_mfma_f32_16x16x32_fp8_fp8 v[8:11], a[194:195], a[34:35], v[8:11]// 00000000EC4C: D3F30008 1C2245C2
	v_mfma_f32_16x16x32_fp8_fp8 v[8:11], a[196:197], a[36:37], v[8:11]// 00000000EC54: D3F30008 1C2249C4
	v_mfma_f32_16x16x32_fp8_fp8 v[8:11], a[198:199], a[38:39], v[8:11]// 00000000EC5C: D3F30008 1C224DC6
	v_fma_f32 v72, v12, v4, v72                                // 00000000EC64: D1CB0048 0522090C
	v_fma_f32 v73, v13, v4, v73                                // 00000000EC6C: D1CB0049 0526090D
	v_fma_f32 v74, v14, v4, v74                                // 00000000EC74: D1CB004A 052A090E
	v_fma_f32 v75, v15, v4, v75                                // 00000000EC7C: D1CB004B 052E090F
	v_mfma_f32_16x16x32_fp8_fp8 v[12:15], a[200:201], a[32:33], 0// 00000000EC84: D3F3000C 1A0241C8
	buffer_load_dwordx4 a[156:159], v53, s[24:27], 0 offen offset:1024// 00000000EC8C: E05C1400 80869C35
	v_mfma_f32_16x16x32_fp8_fp8 v[12:15], a[202:203], a[34:35], v[12:15]// 00000000EC94: D3F3000C 1C3245CA
	v_mfma_f32_16x16x32_fp8_fp8 v[12:15], a[204:205], a[36:37], v[12:15]// 00000000EC9C: D3F3000C 1C3249CC
	v_mfma_f32_16x16x32_fp8_fp8 v[12:15], a[206:207], a[38:39], v[12:15]// 00000000ECA4: D3F3000C 1C324DCE
	v_fma_f32 v84, v8, v6, v84                                 // 00000000ECAC: D1CB0054 05520D08
	v_fma_f32 v85, v9, v6, v85                                 // 00000000ECB4: D1CB0055 05560D09
	v_fma_f32 v86, v10, v6, v86                                // 00000000ECBC: D1CB0056 055A0D0A
	v_fma_f32 v87, v11, v6, v87                                // 00000000ECC4: D1CB0057 055E0D0B
	v_mul_f32_dpp v4, v25, v37 row_newbcast:2 row_mask:0xf bank_mask:0xf// 00000000ECCC: 0A084AFA FF015219
	v_mfma_f32_16x16x32_fp8_fp8 v[8:11], a[208:209], a[32:33], 0// 00000000ECD4: D3F30008 1A0241D0
	buffer_load_dwordx4 a[160:163], v54, s[24:27], 0 offen     // 00000000ECDC: E05C1000 8086A036
	v_mfma_f32_16x16x32_fp8_fp8 v[8:11], a[210:211], a[34:35], v[8:11]// 00000000ECE4: D3F30008 1C2245D2
	v_mfma_f32_16x16x32_fp8_fp8 v[8:11], a[212:213], a[36:37], v[8:11]// 00000000ECEC: D3F30008 1C2249D4
	v_mfma_f32_16x16x32_fp8_fp8 v[8:11], a[214:215], a[38:39], v[8:11]// 00000000ECF4: D3F30008 1C224DD6
	v_fma_f32 v96, v12, v6, v96                                // 00000000ECFC: D1CB0060 05820D0C
	v_fma_f32 v97, v13, v6, v97                                // 00000000ED04: D1CB0061 05860D0D
	v_fma_f32 v98, v14, v6, v98                                // 00000000ED0C: D1CB0062 058A0D0E
	v_fma_f32 v99, v15, v6, v99                                // 00000000ED14: D1CB0063 058E0D0F
	v_mfma_f32_16x16x32_fp8_fp8 v[12:15], a[216:217], a[32:33], 0// 00000000ED1C: D3F3000C 1A0241D8
	buffer_load_dwordx4 a[164:167], v54, s[24:27], 0 offen offset:1024// 00000000ED24: E05C1400 8086A436
	v_mfma_f32_16x16x32_fp8_fp8 v[12:15], a[218:219], a[34:35], v[12:15]// 00000000ED2C: D3F3000C 1C3245DA
	v_mfma_f32_16x16x32_fp8_fp8 v[12:15], a[220:221], a[36:37], v[12:15]// 00000000ED34: D3F3000C 1C3249DC
	v_mfma_f32_16x16x32_fp8_fp8 v[12:15], a[222:223], a[38:39], v[12:15]// 00000000ED3C: D3F3000C 1C324DDE
	v_fma_f32 v108, v8, v4, v108                               // 00000000ED44: D1CB006C 05B20908
	v_fma_f32 v109, v9, v4, v109                               // 00000000ED4C: D1CB006D 05B60909
	v_fma_f32 v110, v10, v4, v110                              // 00000000ED54: D1CB006E 05BA090A
	v_fma_f32 v111, v11, v4, v111                              // 00000000ED5C: D1CB006F 05BE090B
	v_mul_f32_dpp v6, v25, v37 row_newbcast:3 row_mask:0xf bank_mask:0xf// 00000000ED64: 0A0C4AFA FF015319
	v_mfma_f32_16x16x32_fp8_fp8 v[8:11], a[224:225], a[32:33], 0// 00000000ED6C: D3F30008 1A0241E0
	buffer_load_dwordx4 a[168:171], v55, s[24:27], 0 offen     // 00000000ED74: E05C1000 8086A837
	v_mfma_f32_16x16x32_fp8_fp8 v[8:11], a[226:227], a[34:35], v[8:11]// 00000000ED7C: D3F30008 1C2245E2
	v_mfma_f32_16x16x32_fp8_fp8 v[8:11], a[228:229], a[36:37], v[8:11]// 00000000ED84: D3F30008 1C2249E4
	v_mfma_f32_16x16x32_fp8_fp8 v[8:11], a[230:231], a[38:39], v[8:11]// 00000000ED8C: D3F30008 1C224DE6
	v_fma_f32 v120, v12, v4, v120                              // 00000000ED94: D1CB0078 05E2090C
	v_fma_f32 v121, v13, v4, v121                              // 00000000ED9C: D1CB0079 05E6090D
	v_fma_f32 v122, v14, v4, v122                              // 00000000EDA4: D1CB007A 05EA090E
	v_fma_f32 v123, v15, v4, v123                              // 00000000EDAC: D1CB007B 05EE090F
	v_mfma_f32_16x16x32_fp8_fp8 v[12:15], a[232:233], a[32:33], 0// 00000000EDB4: D3F3000C 1A0241E8
	buffer_load_dwordx4 a[172:175], v55, s[24:27], 0 offen offset:1024// 00000000EDBC: E05C1400 8086AC37
	buffer_load_dword v42, s[20:23], 0 offen lds               // 00000000EDC4: E0511000 8005002A
	s_add_u32 m0, 0x100, s48                                   // 00000000EDCC: 807C30FF 00000100
	v_mfma_f32_16x16x32_fp8_fp8 v[12:15], a[234:235], a[34:35], v[12:15]// 00000000EDD4: D3F3000C 1C3245EA
	v_mfma_f32_16x16x32_fp8_fp8 v[12:15], a[236:237], a[36:37], v[12:15]// 00000000EDDC: D3F3000C 1C3249EC
	buffer_load_dword v43, s[20:23], 0 offen lds               // 00000000EDE4: E0511000 8005002B
	s_add_u32 m0, 0x200, s48                                   // 00000000EDEC: 807C30FF 00000200
	v_mfma_f32_16x16x32_fp8_fp8 v[12:15], a[238:239], a[38:39], v[12:15]// 00000000EDF4: D3F3000C 1C324DEE
	v_fma_f32 v132, v8, v6, v132                               // 00000000EDFC: D1CB0084 06120D08
	v_fma_f32 v133, v9, v6, v133                               // 00000000EE04: D1CB0085 06160D09
	v_fma_f32 v134, v10, v6, v134                              // 00000000EE0C: D1CB0086 061A0D0A
	v_fma_f32 v135, v11, v6, v135                              // 00000000EE14: D1CB0087 061E0D0B
	v_mul_f32_dpp v4, v25, v38 row_newbcast:0 row_mask:0xf bank_mask:0xf// 00000000EE1C: 0A084CFA FF015019
	v_mfma_f32_16x16x32_fp8_fp8 v[8:11], a[176:177], a[40:41], 0// 00000000EE24: D3F30008 1A0251B0
	buffer_load_dword v44, s[20:23], 0 offen lds               // 00000000EE2C: E0511000 8005002C
	s_add_u32 m0, 0x300, s48                                   // 00000000EE34: 807C30FF 00000300
	v_mfma_f32_16x16x32_fp8_fp8 v[8:11], a[178:179], a[42:43], v[8:11]// 00000000EE3C: D3F30008 1C2255B2
	v_mfma_f32_16x16x32_fp8_fp8 v[8:11], a[180:181], a[44:45], v[8:11]// 00000000EE44: D3F30008 1C2259B4
	buffer_load_dword v45, s[20:23], 0 offen lds               // 00000000EE4C: E0511000 8005002D
	s_add_u32 m0, 0x400, s48                                   // 00000000EE54: 807C30FF 00000400
	v_mfma_f32_16x16x32_fp8_fp8 v[8:11], a[182:183], a[46:47], v[8:11]// 00000000EE5C: D3F30008 1C225DB6
	v_fma_f32 v144, v12, v6, v144                              // 00000000EE64: D1CB0090 06420D0C
	v_fma_f32 v145, v13, v6, v145                              // 00000000EE6C: D1CB0091 06460D0D
	v_fma_f32 v146, v14, v6, v146                              // 00000000EE74: D1CB0092 064A0D0E
	v_fma_f32 v147, v15, v6, v147                              // 00000000EE7C: D1CB0093 064E0D0F
	v_mfma_f32_16x16x32_fp8_fp8 v[12:15], a[184:185], a[40:41], 0// 00000000EE84: D3F3000C 1A0251B8
	buffer_load_dword v46, s[20:23], 0 offen lds               // 00000000EE8C: E0511000 8005002E
	s_add_u32 m0, 0x500, s48                                   // 00000000EE94: 807C30FF 00000500
	v_mfma_f32_16x16x32_fp8_fp8 v[12:15], a[186:187], a[42:43], v[12:15]// 00000000EE9C: D3F3000C 1C3255BA
	v_mfma_f32_16x16x32_fp8_fp8 v[12:15], a[188:189], a[44:45], v[12:15]// 00000000EEA4: D3F3000C 1C3259BC
	buffer_load_dword v47, s[20:23], 0 offen lds               // 00000000EEAC: E0511000 8005002F
	s_add_u32 m0, 0, s49                                       // 00000000EEB4: 807C3180
	v_mfma_f32_16x16x32_fp8_fp8 v[12:15], a[190:191], a[46:47], v[12:15]// 00000000EEB8: D3F3000C 1C325DBE
	v_fma_f32 v64, v8, v4, v64                                 // 00000000EEC0: D1CB0040 05020908
	v_fma_f32 v65, v9, v4, v65                                 // 00000000EEC8: D1CB0041 05060909
	v_fma_f32 v66, v10, v4, v66                                // 00000000EED0: D1CB0042 050A090A
	v_fma_f32 v67, v11, v4, v67                                // 00000000EED8: D1CB0043 050E090B
	v_mul_f32_dpp v6, v25, v38 row_newbcast:1 row_mask:0xf bank_mask:0xf// 00000000EEE0: 0A0C4CFA FF015119
	v_mfma_f32_16x16x32_fp8_fp8 v[8:11], a[192:193], a[40:41], 0// 00000000EEE8: D3F30008 1A0251C0
	buffer_load_dword v33, v30, s[28:31], 0 offen              // 00000000EEF0: E0501000 8007211E
	v_mfma_f32_16x16x32_fp8_fp8 v[8:11], a[194:195], a[42:43], v[8:11]// 00000000EEF8: D3F30008 1C2255C2
	v_mfma_f32_16x16x32_fp8_fp8 v[8:11], a[196:197], a[44:45], v[8:11]// 00000000EF00: D3F30008 1C2259C4
	buffer_load_dword v34, v31, s[28:31], 0 offen              // 00000000EF08: E0501000 8007221F
	v_mfma_f32_16x16x32_fp8_fp8 v[8:11], a[198:199], a[46:47], v[8:11]// 00000000EF10: D3F30008 1C225DC6
	v_fma_f32 v76, v12, v4, v76                                // 00000000EF18: D1CB004C 0532090C
	v_fma_f32 v77, v13, v4, v77                                // 00000000EF20: D1CB004D 0536090D
	v_fma_f32 v78, v14, v4, v78                                // 00000000EF28: D1CB004E 053A090E
	v_fma_f32 v79, v15, v4, v79                                // 00000000EF30: D1CB004F 053E090F
	v_mfma_f32_16x16x32_fp8_fp8 v[12:15], a[200:201], a[40:41], 0// 00000000EF38: D3F3000C 1A0251C8
	buffer_load_dword v35, v32, s[28:31], 0 offen              // 00000000EF40: E0501000 80072320
	v_mfma_f32_16x16x32_fp8_fp8 v[12:15], a[202:203], a[42:43], v[12:15]// 00000000EF48: D3F3000C 1C3255CA
	v_mfma_f32_16x16x32_fp8_fp8 v[12:15], a[204:205], a[44:45], v[12:15]// 00000000EF50: D3F3000C 1C3259CC
	v_mfma_f32_16x16x32_fp8_fp8 v[12:15], a[206:207], a[46:47], v[12:15]// 00000000EF58: D3F3000C 1C325DCE
	v_fma_f32 v88, v8, v6, v88                                 // 00000000EF60: D1CB0058 05620D08
	v_fma_f32 v89, v9, v6, v89                                 // 00000000EF68: D1CB0059 05660D09
	v_fma_f32 v90, v10, v6, v90                                // 00000000EF70: D1CB005A 056A0D0A
	v_fma_f32 v91, v11, v6, v91                                // 00000000EF78: D1CB005B 056E0D0B
	v_mul_f32_dpp v4, v25, v38 row_newbcast:2 row_mask:0xf bank_mask:0xf// 00000000EF80: 0A084CFA FF015219
	v_mfma_f32_16x16x32_fp8_fp8 v[8:11], a[208:209], a[40:41], 0// 00000000EF88: D3F30008 1A0251D0
	v_mfma_f32_16x16x32_fp8_fp8 v[8:11], a[210:211], a[42:43], v[8:11]// 00000000EF90: D3F30008 1C2255D2
	v_mfma_f32_16x16x32_fp8_fp8 v[8:11], a[212:213], a[44:45], v[8:11]// 00000000EF98: D3F30008 1C2259D4
	v_mfma_f32_16x16x32_fp8_fp8 v[8:11], a[214:215], a[46:47], v[8:11]// 00000000EFA0: D3F30008 1C225DD6
	v_fma_f32 v100, v12, v6, v100                              // 00000000EFA8: D1CB0064 05920D0C
	v_fma_f32 v101, v13, v6, v101                              // 00000000EFB0: D1CB0065 05960D0D
	v_fma_f32 v102, v14, v6, v102                              // 00000000EFB8: D1CB0066 059A0D0E
	v_fma_f32 v103, v15, v6, v103                              // 00000000EFC0: D1CB0067 059E0D0F
	v_mfma_f32_16x16x32_fp8_fp8 v[12:15], a[216:217], a[40:41], 0// 00000000EFC8: D3F3000C 1A0251D8
	v_mfma_f32_16x16x32_fp8_fp8 v[12:15], a[218:219], a[42:43], v[12:15]// 00000000EFD0: D3F3000C 1C3255DA
	v_mfma_f32_16x16x32_fp8_fp8 v[12:15], a[220:221], a[44:45], v[12:15]// 00000000EFD8: D3F3000C 1C3259DC
	v_mfma_f32_16x16x32_fp8_fp8 v[12:15], a[222:223], a[46:47], v[12:15]// 00000000EFE0: D3F3000C 1C325DDE
	v_fma_f32 v112, v8, v4, v112                               // 00000000EFE8: D1CB0070 05C20908
	v_fma_f32 v113, v9, v4, v113                               // 00000000EFF0: D1CB0071 05C60909
	v_fma_f32 v114, v10, v4, v114                              // 00000000EFF8: D1CB0072 05CA090A
	v_fma_f32 v115, v11, v4, v115                              // 00000000F000: D1CB0073 05CE090B
	v_mul_f32_dpp v6, v25, v38 row_newbcast:3 row_mask:0xf bank_mask:0xf// 00000000F008: 0A0C4CFA FF015319
	v_mfma_f32_16x16x32_fp8_fp8 v[8:11], a[224:225], a[40:41], 0// 00000000F010: D3F30008 1A0251E0
	v_mfma_f32_16x16x32_fp8_fp8 v[8:11], a[226:227], a[42:43], v[8:11]// 00000000F018: D3F30008 1C2255E2
	v_mfma_f32_16x16x32_fp8_fp8 v[8:11], a[228:229], a[44:45], v[8:11]// 00000000F020: D3F30008 1C2259E4
	v_mfma_f32_16x16x32_fp8_fp8 v[8:11], a[230:231], a[46:47], v[8:11]// 00000000F028: D3F30008 1C225DE6
	v_fma_f32 v124, v12, v4, v124                              // 00000000F030: D1CB007C 05F2090C
	v_fma_f32 v125, v13, v4, v125                              // 00000000F038: D1CB007D 05F6090D
	v_fma_f32 v126, v14, v4, v126                              // 00000000F040: D1CB007E 05FA090E
	v_fma_f32 v127, v15, v4, v127                              // 00000000F048: D1CB007F 05FE090F
	v_mfma_f32_16x16x32_fp8_fp8 v[12:15], a[232:233], a[40:41], 0// 00000000F050: D3F3000C 1A0251E8
	v_mfma_f32_16x16x32_fp8_fp8 v[12:15], a[234:235], a[42:43], v[12:15]// 00000000F058: D3F3000C 1C3255EA
	v_mfma_f32_16x16x32_fp8_fp8 v[12:15], a[236:237], a[44:45], v[12:15]// 00000000F060: D3F3000C 1C3259EC
	v_mfma_f32_16x16x32_fp8_fp8 v[12:15], a[238:239], a[46:47], v[12:15]// 00000000F068: D3F3000C 1C325DEE
	v_fma_f32 v136, v8, v6, v136                               // 00000000F070: D1CB0088 06220D08
	v_fma_f32 v137, v9, v6, v137                               // 00000000F078: D1CB0089 06260D09
	v_fma_f32 v138, v10, v6, v138                              // 00000000F080: D1CB008A 062A0D0A
	v_fma_f32 v139, v11, v6, v139                              // 00000000F088: D1CB008B 062E0D0B
	v_fma_f32 v148, v12, v6, v148                              // 00000000F090: D1CB0094 06520D0C
	v_fma_f32 v149, v13, v6, v149                              // 00000000F098: D1CB0095 06560D0D
	v_fma_f32 v150, v14, v6, v150                              // 00000000F0A0: D1CB0096 065A0D0E
	v_fma_f32 v151, v15, v6, v151                              // 00000000F0A8: D1CB0097 065E0D0F
	s_waitcnt vmcnt(26)                                        // 00000000F0B0: BF8C4F7A
	s_barrier                                                  // 00000000F0B4: BF8A0000
	v_mul_f32_dpp v4, v28, v36 row_newbcast:0 row_mask:0xf bank_mask:0xf// 00000000F0B8: 0A0848FA FF01501C
	v_mfma_f32_16x16x32_fp8_fp8 v[8:11], a[48:49], a[24:25], 0 // 00000000F0C0: D3F30008 1A023130
	buffer_load_dword v29, v23, s[32:35], 0 offen              // 00000000F0C8: E0501000 80081D17
	buffer_load_dwordx4 a[176:179], v48, s[84:87], 0 offen     // 00000000F0D0: E05C1000 8095B030
	v_mfma_f32_16x16x32_fp8_fp8 v[8:11], a[50:51], a[26:27], v[8:11]// 00000000F0D8: D3F30008 1C223532
	v_mfma_f32_16x16x32_fp8_fp8 v[8:11], a[52:53], a[28:29], v[8:11]// 00000000F0E0: D3F30008 1C223934
	ds_read_b128 a[0:3], v2 offset:12544                       // 00000000F0E8: DBFE3100 00000002
	ds_read_b128 a[4:7], v2 offset:12608                       // 00000000F0F0: DBFE3140 04000002
	v_mfma_f32_16x16x32_fp8_fp8 v[8:11], a[54:55], a[30:31], v[8:11]// 00000000F0F8: D3F30008 1C223D36
	v_mfma_f32_16x16x32_fp8_fp8 v[12:15], a[56:57], a[24:25], 0// 00000000F100: D3F3000C 1A023138
	buffer_load_dwordx4 a[180:183], v48, s[84:87], 0 offen offset:1024// 00000000F108: E05C1400 8095B430
	v_mfma_f32_16x16x32_fp8_fp8 v[12:15], a[58:59], a[26:27], v[12:15]// 00000000F110: D3F3000C 1C32353A
	v_mfma_f32_16x16x32_fp8_fp8 v[12:15], a[60:61], a[28:29], v[12:15]// 00000000F118: D3F3000C 1C32393C
	ds_read_b128 a[8:11], v2 offset:13056                      // 00000000F120: DBFE3300 08000002
	ds_read_b128 a[12:15], v2 offset:13120                     // 00000000F128: DBFE3340 0C000002
	v_mfma_f32_16x16x32_fp8_fp8 v[12:15], a[62:63], a[30:31], v[12:15]// 00000000F130: D3F3000C 1C323D3E
	v_fma_f32 v152, v8, v4, v152                               // 00000000F138: D1CB0098 06620908
	v_fma_f32 v153, v9, v4, v153                               // 00000000F140: D1CB0099 06660909
	v_fma_f32 v154, v10, v4, v154                              // 00000000F148: D1CB009A 066A090A
	v_fma_f32 v155, v11, v4, v155                              // 00000000F150: D1CB009B 066E090B
	v_mul_f32_dpp v6, v28, v36 row_newbcast:1 row_mask:0xf bank_mask:0xf// 00000000F158: 0A0C48FA FF01511C
	v_mfma_f32_16x16x32_fp8_fp8 v[8:11], a[64:65], a[24:25], 0 // 00000000F160: D3F30008 1A023140
	buffer_load_dwordx4 a[184:187], v49, s[84:87], 0 offen     // 00000000F168: E05C1000 8095B831
	v_mfma_f32_16x16x32_fp8_fp8 v[8:11], a[66:67], a[26:27], v[8:11]// 00000000F170: D3F30008 1C223542
	v_mfma_f32_16x16x32_fp8_fp8 v[8:11], a[68:69], a[28:29], v[8:11]// 00000000F178: D3F30008 1C223944
	ds_read_b128 a[16:19], v2 offset:13568                     // 00000000F180: DBFE3500 10000002
	ds_read_b128 a[20:23], v2 offset:13632                     // 00000000F188: DBFE3540 14000002
	v_mfma_f32_16x16x32_fp8_fp8 v[8:11], a[70:71], a[30:31], v[8:11]// 00000000F190: D3F30008 1C223D46
	v_fma_f32 v164, v12, v4, v164                              // 00000000F198: D1CB00A4 0692090C
	v_fma_f32 v165, v13, v4, v165                              // 00000000F1A0: D1CB00A5 0696090D
	v_fma_f32 v166, v14, v4, v166                              // 00000000F1A8: D1CB00A6 069A090E
	v_fma_f32 v167, v15, v4, v167                              // 00000000F1B0: D1CB00A7 069E090F
	v_mfma_f32_16x16x32_fp8_fp8 v[12:15], a[72:73], a[24:25], 0// 00000000F1B8: D3F3000C 1A023148
	buffer_load_dwordx4 a[188:191], v49, s[84:87], 0 offen offset:1024// 00000000F1C0: E05C1400 8095BC31
	v_mfma_f32_16x16x32_fp8_fp8 v[12:15], a[74:75], a[26:27], v[12:15]// 00000000F1C8: D3F3000C 1C32354A
	v_mfma_f32_16x16x32_fp8_fp8 v[12:15], a[76:77], a[28:29], v[12:15]// 00000000F1D0: D3F3000C 1C32394C
	v_mfma_f32_16x16x32_fp8_fp8 v[12:15], a[78:79], a[30:31], v[12:15]// 00000000F1D8: D3F3000C 1C323D4E
	v_fma_f32 v176, v8, v6, v176                               // 00000000F1E0: D1CB00B0 06C20D08
	v_fma_f32 v177, v9, v6, v177                               // 00000000F1E8: D1CB00B1 06C60D09
	v_fma_f32 v178, v10, v6, v178                              // 00000000F1F0: D1CB00B2 06CA0D0A
	v_fma_f32 v179, v11, v6, v179                              // 00000000F1F8: D1CB00B3 06CE0D0B
	v_mul_f32_dpp v4, v28, v36 row_newbcast:2 row_mask:0xf bank_mask:0xf// 00000000F200: 0A0848FA FF01521C
	v_mfma_f32_16x16x32_fp8_fp8 v[8:11], a[80:81], a[24:25], 0 // 00000000F208: D3F30008 1A023150
	buffer_load_dwordx4 a[192:195], v50, s[84:87], 0 offen     // 00000000F210: E05C1000 8095C032
	v_mfma_f32_16x16x32_fp8_fp8 v[8:11], a[82:83], a[26:27], v[8:11]// 00000000F218: D3F30008 1C223552
	v_mfma_f32_16x16x32_fp8_fp8 v[8:11], a[84:85], a[28:29], v[8:11]// 00000000F220: D3F30008 1C223954
	v_mfma_f32_16x16x32_fp8_fp8 v[8:11], a[86:87], a[30:31], v[8:11]// 00000000F228: D3F30008 1C223D56
	v_fma_f32 v188, v12, v6, v188                              // 00000000F230: D1CB00BC 06F20D0C
	v_fma_f32 v189, v13, v6, v189                              // 00000000F238: D1CB00BD 06F60D0D
	v_fma_f32 v190, v14, v6, v190                              // 00000000F240: D1CB00BE 06FA0D0E
	v_fma_f32 v191, v15, v6, v191                              // 00000000F248: D1CB00BF 06FE0D0F
	v_mfma_f32_16x16x32_fp8_fp8 v[12:15], a[88:89], a[24:25], 0// 00000000F250: D3F3000C 1A023158
	buffer_load_dwordx4 a[196:199], v50, s[84:87], 0 offen offset:1024// 00000000F258: E05C1400 8095C432
	v_mfma_f32_16x16x32_fp8_fp8 v[12:15], a[90:91], a[26:27], v[12:15]// 00000000F260: D3F3000C 1C32355A
	v_mfma_f32_16x16x32_fp8_fp8 v[12:15], a[92:93], a[28:29], v[12:15]// 00000000F268: D3F3000C 1C32395C
	v_mfma_f32_16x16x32_fp8_fp8 v[12:15], a[94:95], a[30:31], v[12:15]// 00000000F270: D3F3000C 1C323D5E
	v_fma_f32 v200, v8, v4, v200                               // 00000000F278: D1CB00C8 07220908
	v_fma_f32 v201, v9, v4, v201                               // 00000000F280: D1CB00C9 07260909
	v_fma_f32 v202, v10, v4, v202                              // 00000000F288: D1CB00CA 072A090A
	v_fma_f32 v203, v11, v4, v203                              // 00000000F290: D1CB00CB 072E090B
	v_mul_f32_dpp v6, v28, v36 row_newbcast:3 row_mask:0xf bank_mask:0xf// 00000000F298: 0A0C48FA FF01531C
	v_mfma_f32_16x16x32_fp8_fp8 v[8:11], a[96:97], a[24:25], 0 // 00000000F2A0: D3F30008 1A023160
	buffer_load_dwordx4 a[200:203], v51, s[84:87], 0 offen     // 00000000F2A8: E05C1000 8095C833
	v_mfma_f32_16x16x32_fp8_fp8 v[8:11], a[98:99], a[26:27], v[8:11]// 00000000F2B0: D3F30008 1C223562
	v_mfma_f32_16x16x32_fp8_fp8 v[8:11], a[100:101], a[28:29], v[8:11]// 00000000F2B8: D3F30008 1C223964
	v_mfma_f32_16x16x32_fp8_fp8 v[8:11], a[102:103], a[30:31], v[8:11]// 00000000F2C0: D3F30008 1C223D66
	v_fma_f32 v212, v12, v4, v212                              // 00000000F2C8: D1CB00D4 0752090C
	v_fma_f32 v213, v13, v4, v213                              // 00000000F2D0: D1CB00D5 0756090D
	v_fma_f32 v214, v14, v4, v214                              // 00000000F2D8: D1CB00D6 075A090E
	v_fma_f32 v215, v15, v4, v215                              // 00000000F2E0: D1CB00D7 075E090F
	v_mfma_f32_16x16x32_fp8_fp8 v[12:15], a[104:105], a[24:25], 0// 00000000F2E8: D3F3000C 1A023168
	buffer_load_dwordx4 a[204:207], v51, s[84:87], 0 offen offset:1024// 00000000F2F0: E05C1400 8095CC33
	v_mfma_f32_16x16x32_fp8_fp8 v[12:15], a[106:107], a[26:27], v[12:15]// 00000000F2F8: D3F3000C 1C32356A
	v_mfma_f32_16x16x32_fp8_fp8 v[12:15], a[108:109], a[28:29], v[12:15]// 00000000F300: D3F3000C 1C32396C
	v_mfma_f32_16x16x32_fp8_fp8 v[12:15], a[110:111], a[30:31], v[12:15]// 00000000F308: D3F3000C 1C323D6E
	v_fma_f32 v224, v8, v6, v224                               // 00000000F310: D1CB00E0 07820D08
	v_fma_f32 v225, v9, v6, v225                               // 00000000F318: D1CB00E1 07860D09
	v_fma_f32 v226, v10, v6, v226                              // 00000000F320: D1CB00E2 078A0D0A
	v_fma_f32 v227, v11, v6, v227                              // 00000000F328: D1CB00E3 078E0D0B
	v_mul_f32_dpp v4, v28, v37 row_newbcast:0 row_mask:0xf bank_mask:0xf// 00000000F330: 0A084AFA FF01501C
	v_mfma_f32_16x16x32_fp8_fp8 v[8:11], a[48:49], a[32:33], 0 // 00000000F338: D3F30008 1A024130
	buffer_load_dwordx4 a[208:211], v52, s[84:87], 0 offen     // 00000000F340: E05C1000 8095D034
	v_mfma_f32_16x16x32_fp8_fp8 v[8:11], a[50:51], a[34:35], v[8:11]// 00000000F348: D3F30008 1C224532
	v_mfma_f32_16x16x32_fp8_fp8 v[8:11], a[52:53], a[36:37], v[8:11]// 00000000F350: D3F30008 1C224934
	v_mfma_f32_16x16x32_fp8_fp8 v[8:11], a[54:55], a[38:39], v[8:11]// 00000000F358: D3F30008 1C224D36
	v_fma_f32 v236, v12, v6, v236                              // 00000000F360: D1CB00EC 07B20D0C
	v_fma_f32 v237, v13, v6, v237                              // 00000000F368: D1CB00ED 07B60D0D
	v_fma_f32 v238, v14, v6, v238                              // 00000000F370: D1CB00EE 07BA0D0E
	v_fma_f32 v239, v15, v6, v239                              // 00000000F378: D1CB00EF 07BE0D0F
	v_mfma_f32_16x16x32_fp8_fp8 v[12:15], a[56:57], a[32:33], 0// 00000000F380: D3F3000C 1A024138
	buffer_load_dwordx4 a[212:215], v52, s[84:87], 0 offen offset:1024// 00000000F388: E05C1400 8095D434
	v_mfma_f32_16x16x32_fp8_fp8 v[12:15], a[58:59], a[34:35], v[12:15]// 00000000F390: D3F3000C 1C32453A
	v_mfma_f32_16x16x32_fp8_fp8 v[12:15], a[60:61], a[36:37], v[12:15]// 00000000F398: D3F3000C 1C32493C
	v_mfma_f32_16x16x32_fp8_fp8 v[12:15], a[62:63], a[38:39], v[12:15]// 00000000F3A0: D3F3000C 1C324D3E
	v_fma_f32 v156, v8, v4, v156                               // 00000000F3A8: D1CB009C 06720908
	v_fma_f32 v157, v9, v4, v157                               // 00000000F3B0: D1CB009D 06760909
	v_fma_f32 v158, v10, v4, v158                              // 00000000F3B8: D1CB009E 067A090A
	v_fma_f32 v159, v11, v4, v159                              // 00000000F3C0: D1CB009F 067E090B
	v_mul_f32_dpp v6, v28, v37 row_newbcast:1 row_mask:0xf bank_mask:0xf// 00000000F3C8: 0A0C4AFA FF01511C
	v_mfma_f32_16x16x32_fp8_fp8 v[8:11], a[64:65], a[32:33], 0 // 00000000F3D0: D3F30008 1A024140
	buffer_load_dwordx4 a[216:219], v53, s[84:87], 0 offen     // 00000000F3D8: E05C1000 8095D835
	v_mfma_f32_16x16x32_fp8_fp8 v[8:11], a[66:67], a[34:35], v[8:11]// 00000000F3E0: D3F30008 1C224542
	v_mfma_f32_16x16x32_fp8_fp8 v[8:11], a[68:69], a[36:37], v[8:11]// 00000000F3E8: D3F30008 1C224944
	v_mfma_f32_16x16x32_fp8_fp8 v[8:11], a[70:71], a[38:39], v[8:11]// 00000000F3F0: D3F30008 1C224D46
	v_fma_f32 v168, v12, v4, v168                              // 00000000F3F8: D1CB00A8 06A2090C
	v_fma_f32 v169, v13, v4, v169                              // 00000000F400: D1CB00A9 06A6090D
	v_fma_f32 v170, v14, v4, v170                              // 00000000F408: D1CB00AA 06AA090E
	v_fma_f32 v171, v15, v4, v171                              // 00000000F410: D1CB00AB 06AE090F
	v_mfma_f32_16x16x32_fp8_fp8 v[12:15], a[72:73], a[32:33], 0// 00000000F418: D3F3000C 1A024148
	buffer_load_dwordx4 a[220:223], v53, s[84:87], 0 offen offset:1024// 00000000F420: E05C1400 8095DC35
	v_mfma_f32_16x16x32_fp8_fp8 v[12:15], a[74:75], a[34:35], v[12:15]// 00000000F428: D3F3000C 1C32454A
	v_mfma_f32_16x16x32_fp8_fp8 v[12:15], a[76:77], a[36:37], v[12:15]// 00000000F430: D3F3000C 1C32494C
	v_mfma_f32_16x16x32_fp8_fp8 v[12:15], a[78:79], a[38:39], v[12:15]// 00000000F438: D3F3000C 1C324D4E
	v_fma_f32 v180, v8, v6, v180                               // 00000000F440: D1CB00B4 06D20D08
	v_fma_f32 v181, v9, v6, v181                               // 00000000F448: D1CB00B5 06D60D09
	v_fma_f32 v182, v10, v6, v182                              // 00000000F450: D1CB00B6 06DA0D0A
	v_fma_f32 v183, v11, v6, v183                              // 00000000F458: D1CB00B7 06DE0D0B
	v_mul_f32_dpp v4, v28, v37 row_newbcast:2 row_mask:0xf bank_mask:0xf// 00000000F460: 0A084AFA FF01521C
	v_mfma_f32_16x16x32_fp8_fp8 v[8:11], a[80:81], a[32:33], 0 // 00000000F468: D3F30008 1A024150
	buffer_load_dwordx4 a[224:227], v54, s[84:87], 0 offen     // 00000000F470: E05C1000 8095E036
	v_mfma_f32_16x16x32_fp8_fp8 v[8:11], a[82:83], a[34:35], v[8:11]// 00000000F478: D3F30008 1C224552
	v_mfma_f32_16x16x32_fp8_fp8 v[8:11], a[84:85], a[36:37], v[8:11]// 00000000F480: D3F30008 1C224954
	v_mfma_f32_16x16x32_fp8_fp8 v[8:11], a[86:87], a[38:39], v[8:11]// 00000000F488: D3F30008 1C224D56
	v_fma_f32 v192, v12, v6, v192                              // 00000000F490: D1CB00C0 07020D0C
	v_fma_f32 v193, v13, v6, v193                              // 00000000F498: D1CB00C1 07060D0D
	v_fma_f32 v194, v14, v6, v194                              // 00000000F4A0: D1CB00C2 070A0D0E
	v_fma_f32 v195, v15, v6, v195                              // 00000000F4A8: D1CB00C3 070E0D0F
	v_mfma_f32_16x16x32_fp8_fp8 v[12:15], a[88:89], a[32:33], 0// 00000000F4B0: D3F3000C 1A024158
	buffer_load_dwordx4 a[228:231], v54, s[84:87], 0 offen offset:1024// 00000000F4B8: E05C1400 8095E436
	v_mfma_f32_16x16x32_fp8_fp8 v[12:15], a[90:91], a[34:35], v[12:15]// 00000000F4C0: D3F3000C 1C32455A
	v_mfma_f32_16x16x32_fp8_fp8 v[12:15], a[92:93], a[36:37], v[12:15]// 00000000F4C8: D3F3000C 1C32495C
	v_mfma_f32_16x16x32_fp8_fp8 v[12:15], a[94:95], a[38:39], v[12:15]// 00000000F4D0: D3F3000C 1C324D5E
	v_fma_f32 v204, v8, v4, v204                               // 00000000F4D8: D1CB00CC 07320908
	v_fma_f32 v205, v9, v4, v205                               // 00000000F4E0: D1CB00CD 07360909
	v_fma_f32 v206, v10, v4, v206                              // 00000000F4E8: D1CB00CE 073A090A
	v_fma_f32 v207, v11, v4, v207                              // 00000000F4F0: D1CB00CF 073E090B
	v_mul_f32_dpp v6, v28, v37 row_newbcast:3 row_mask:0xf bank_mask:0xf// 00000000F4F8: 0A0C4AFA FF01531C
	v_mfma_f32_16x16x32_fp8_fp8 v[8:11], a[96:97], a[32:33], 0 // 00000000F500: D3F30008 1A024160
	buffer_load_dwordx4 a[232:235], v55, s[84:87], 0 offen     // 00000000F508: E05C1000 8095E837
	v_mfma_f32_16x16x32_fp8_fp8 v[8:11], a[98:99], a[34:35], v[8:11]// 00000000F510: D3F30008 1C224562
	v_mfma_f32_16x16x32_fp8_fp8 v[8:11], a[100:101], a[36:37], v[8:11]// 00000000F518: D3F30008 1C224964
	v_mfma_f32_16x16x32_fp8_fp8 v[8:11], a[102:103], a[38:39], v[8:11]// 00000000F520: D3F30008 1C224D66
	v_fma_f32 v216, v12, v4, v216                              // 00000000F528: D1CB00D8 0762090C
	v_fma_f32 v217, v13, v4, v217                              // 00000000F530: D1CB00D9 0766090D
	v_fma_f32 v218, v14, v4, v218                              // 00000000F538: D1CB00DA 076A090E
	v_fma_f32 v219, v15, v4, v219                              // 00000000F540: D1CB00DB 076E090F
	v_mfma_f32_16x16x32_fp8_fp8 v[12:15], a[104:105], a[32:33], 0// 00000000F548: D3F3000C 1A024168
	buffer_load_dwordx4 a[236:239], v55, s[84:87], 0 offen offset:1024// 00000000F550: E05C1400 8095EC37
	v_mfma_f32_16x16x32_fp8_fp8 v[12:15], a[106:107], a[34:35], v[12:15]// 00000000F558: D3F3000C 1C32456A
	v_mfma_f32_16x16x32_fp8_fp8 v[12:15], a[108:109], a[36:37], v[12:15]// 00000000F560: D3F3000C 1C32496C
	v_mfma_f32_16x16x32_fp8_fp8 v[12:15], a[110:111], a[38:39], v[12:15]// 00000000F568: D3F3000C 1C324D6E
	v_fma_f32 v228, v8, v6, v228                               // 00000000F570: D1CB00E4 07920D08
	v_fma_f32 v229, v9, v6, v229                               // 00000000F578: D1CB00E5 07960D09
	v_fma_f32 v230, v10, v6, v230                              // 00000000F580: D1CB00E6 079A0D0A
	v_fma_f32 v231, v11, v6, v231                              // 00000000F588: D1CB00E7 079E0D0B
	v_mul_f32_dpp v4, v28, v38 row_newbcast:0 row_mask:0xf bank_mask:0xf// 00000000F590: 0A084CFA FF01501C
	v_mfma_f32_16x16x32_fp8_fp8 v[8:11], a[48:49], a[40:41], 0 // 00000000F598: D3F30008 1A025130
	v_mfma_f32_16x16x32_fp8_fp8 v[8:11], a[50:51], a[42:43], v[8:11]// 00000000F5A0: D3F30008 1C225532
	v_mfma_f32_16x16x32_fp8_fp8 v[8:11], a[52:53], a[44:45], v[8:11]// 00000000F5A8: D3F30008 1C225934
	v_mfma_f32_16x16x32_fp8_fp8 v[8:11], a[54:55], a[46:47], v[8:11]// 00000000F5B0: D3F30008 1C225D36
	v_fma_f32 v240, v12, v6, v240                              // 00000000F5B8: D1CB00F0 07C20D0C
	v_fma_f32 v241, v13, v6, v241                              // 00000000F5C0: D1CB00F1 07C60D0D
	v_fma_f32 v242, v14, v6, v242                              // 00000000F5C8: D1CB00F2 07CA0D0E
	v_fma_f32 v243, v15, v6, v243                              // 00000000F5D0: D1CB00F3 07CE0D0F
	v_mfma_f32_16x16x32_fp8_fp8 v[12:15], a[56:57], a[40:41], 0// 00000000F5D8: D3F3000C 1A025138
	v_mfma_f32_16x16x32_fp8_fp8 v[12:15], a[58:59], a[42:43], v[12:15]// 00000000F5E0: D3F3000C 1C32553A
	v_mfma_f32_16x16x32_fp8_fp8 v[12:15], a[60:61], a[44:45], v[12:15]// 00000000F5E8: D3F3000C 1C32593C
	v_mfma_f32_16x16x32_fp8_fp8 v[12:15], a[62:63], a[46:47], v[12:15]// 00000000F5F0: D3F3000C 1C325D3E
	v_fma_f32 v160, v8, v4, v160                               // 00000000F5F8: D1CB00A0 06820908
	v_fma_f32 v161, v9, v4, v161                               // 00000000F600: D1CB00A1 06860909
	v_fma_f32 v162, v10, v4, v162                              // 00000000F608: D1CB00A2 068A090A
	v_fma_f32 v163, v11, v4, v163                              // 00000000F610: D1CB00A3 068E090B
	v_mul_f32_dpp v6, v28, v38 row_newbcast:1 row_mask:0xf bank_mask:0xf// 00000000F618: 0A0C4CFA FF01511C
	v_mfma_f32_16x16x32_fp8_fp8 v[8:11], a[64:65], a[40:41], 0 // 00000000F620: D3F30008 1A025140
	v_mfma_f32_16x16x32_fp8_fp8 v[8:11], a[66:67], a[42:43], v[8:11]// 00000000F628: D3F30008 1C225542
	v_mfma_f32_16x16x32_fp8_fp8 v[8:11], a[68:69], a[44:45], v[8:11]// 00000000F630: D3F30008 1C225944
	v_mfma_f32_16x16x32_fp8_fp8 v[8:11], a[70:71], a[46:47], v[8:11]// 00000000F638: D3F30008 1C225D46
	v_fma_f32 v172, v12, v4, v172                              // 00000000F640: D1CB00AC 06B2090C
	v_fma_f32 v173, v13, v4, v173                              // 00000000F648: D1CB00AD 06B6090D
	v_fma_f32 v174, v14, v4, v174                              // 00000000F650: D1CB00AE 06BA090E
	v_fma_f32 v175, v15, v4, v175                              // 00000000F658: D1CB00AF 06BE090F
	v_mfma_f32_16x16x32_fp8_fp8 v[12:15], a[72:73], a[40:41], 0// 00000000F660: D3F3000C 1A025148
	v_mfma_f32_16x16x32_fp8_fp8 v[12:15], a[74:75], a[42:43], v[12:15]// 00000000F668: D3F3000C 1C32554A
	v_mfma_f32_16x16x32_fp8_fp8 v[12:15], a[76:77], a[44:45], v[12:15]// 00000000F670: D3F3000C 1C32594C
	v_mfma_f32_16x16x32_fp8_fp8 v[12:15], a[78:79], a[46:47], v[12:15]// 00000000F678: D3F3000C 1C325D4E
	v_fma_f32 v184, v8, v6, v184                               // 00000000F680: D1CB00B8 06E20D08
	v_fma_f32 v185, v9, v6, v185                               // 00000000F688: D1CB00B9 06E60D09
	v_fma_f32 v186, v10, v6, v186                              // 00000000F690: D1CB00BA 06EA0D0A
	v_fma_f32 v187, v11, v6, v187                              // 00000000F698: D1CB00BB 06EE0D0B
	v_mul_f32_dpp v4, v28, v38 row_newbcast:2 row_mask:0xf bank_mask:0xf// 00000000F6A0: 0A084CFA FF01521C
	v_mfma_f32_16x16x32_fp8_fp8 v[8:11], a[80:81], a[40:41], 0 // 00000000F6A8: D3F30008 1A025150
	v_mfma_f32_16x16x32_fp8_fp8 v[8:11], a[82:83], a[42:43], v[8:11]// 00000000F6B0: D3F30008 1C225552
	v_mfma_f32_16x16x32_fp8_fp8 v[8:11], a[84:85], a[44:45], v[8:11]// 00000000F6B8: D3F30008 1C225954
	v_mfma_f32_16x16x32_fp8_fp8 v[8:11], a[86:87], a[46:47], v[8:11]// 00000000F6C0: D3F30008 1C225D56
	v_fma_f32 v196, v12, v6, v196                              // 00000000F6C8: D1CB00C4 07120D0C
	v_fma_f32 v197, v13, v6, v197                              // 00000000F6D0: D1CB00C5 07160D0D
	v_fma_f32 v198, v14, v6, v198                              // 00000000F6D8: D1CB00C6 071A0D0E
	v_fma_f32 v199, v15, v6, v199                              // 00000000F6E0: D1CB00C7 071E0D0F
	v_mfma_f32_16x16x32_fp8_fp8 v[12:15], a[88:89], a[40:41], 0// 00000000F6E8: D3F3000C 1A025158
	v_mfma_f32_16x16x32_fp8_fp8 v[12:15], a[90:91], a[42:43], v[12:15]// 00000000F6F0: D3F3000C 1C32555A
	v_mfma_f32_16x16x32_fp8_fp8 v[12:15], a[92:93], a[44:45], v[12:15]// 00000000F6F8: D3F3000C 1C32595C
	v_mfma_f32_16x16x32_fp8_fp8 v[12:15], a[94:95], a[46:47], v[12:15]// 00000000F700: D3F3000C 1C325D5E
	v_fma_f32 v208, v8, v4, v208                               // 00000000F708: D1CB00D0 07420908
	v_fma_f32 v209, v9, v4, v209                               // 00000000F710: D1CB00D1 07460909
	v_fma_f32 v210, v10, v4, v210                              // 00000000F718: D1CB00D2 074A090A
	v_fma_f32 v211, v11, v4, v211                              // 00000000F720: D1CB00D3 074E090B
	v_mul_f32_dpp v6, v28, v38 row_newbcast:3 row_mask:0xf bank_mask:0xf// 00000000F728: 0A0C4CFA FF01531C
	v_mfma_f32_16x16x32_fp8_fp8 v[8:11], a[96:97], a[40:41], 0 // 00000000F730: D3F30008 1A025160
	s_add_u32 s60, 0x180, s80                                  // 00000000F738: 803C50FF 00000180
	s_cmp_lt_u32 s60, s81                                      // 00000000F740: BF0A513C
	s_cselect_b32 s57, s57, 0                                  // 00000000F744: 85398039
	s_cselect_b32 s3, s3, 0                                    // 00000000F748: 85038003
	v_mfma_f32_16x16x32_fp8_fp8 v[8:11], a[98:99], a[42:43], v[8:11]// 00000000F74C: D3F30008 1C225562
	s_add_u32 s60, 0x100, s80                                  // 00000000F754: 803C50FF 00000100
	s_cmp_lt_u32 s60, s81                                      // 00000000F75C: BF0A513C
	s_cselect_b32 s58, s58, 0                                  // 00000000F760: 853A803A
	v_mfma_f32_16x16x32_fp8_fp8 v[8:11], a[100:101], a[44:45], v[8:11]// 00000000F764: D3F30008 1C225964
	s_add_u32 s60, 0x100, s80                                  // 00000000F76C: 803C50FF 00000100
	s_cmp_lt_u32 s60, s81                                      // 00000000F774: BF0A513C
	s_cselect_b32 s83, s83, 0                                  // 00000000F778: 85538053
	s_cselect_b32 s4, s4, 0                                    // 00000000F77C: 85048004
	v_mfma_f32_16x16x32_fp8_fp8 v[8:11], a[102:103], a[46:47], v[8:11]// 00000000F780: D3F30008 1C225D66
	s_add_u32 s24, s58, s24                                    // 00000000F788: 8018183A
	s_addc_u32 s25, 0, s25                                     // 00000000F78C: 82191980
	v_fma_f32 v220, v12, v4, v220                              // 00000000F790: D1CB00DC 0772090C
	v_fma_f32 v221, v13, v4, v221                              // 00000000F798: D1CB00DD 0776090D
	v_fma_f32 v222, v14, v4, v222                              // 00000000F7A0: D1CB00DE 077A090E
	v_fma_f32 v223, v15, v4, v223                              // 00000000F7A8: D1CB00DF 077E090F
	v_mfma_f32_16x16x32_fp8_fp8 v[12:15], a[104:105], a[40:41], 0// 00000000F7B0: D3F3000C 1A025168
	s_add_u32 s20, s57, s20                                    // 00000000F7B8: 80141439
	s_addc_u32 s21, 0, s21                                     // 00000000F7BC: 82151580
	s_add_u32 s28, s3, s28                                     // 00000000F7C0: 801C1C03
	s_addc_u32 s29, 0, s29                                     // 00000000F7C4: 821D1D80
	v_mfma_f32_16x16x32_fp8_fp8 v[12:15], a[106:107], a[42:43], v[12:15]// 00000000F7C8: D3F3000C 1C32556A
	s_add_u32 s84, s83, s84                                    // 00000000F7D0: 80545453
	s_addc_u32 s85, 0, s85                                     // 00000000F7D4: 82555580
	v_mfma_f32_16x16x32_fp8_fp8 v[12:15], a[108:109], a[44:45], v[12:15]// 00000000F7D8: D3F3000C 1C32596C
	s_add_u32 s32, s4, s32                                     // 00000000F7E0: 80202004
	s_addc_u32 s33, 0, s33                                     // 00000000F7E4: 82212180
	v_mfma_f32_16x16x32_fp8_fp8 v[12:15], a[110:111], a[46:47], v[12:15]// 00000000F7E8: D3F3000C 1C325D6E
	v_fma_f32 v232, v8, v6, v232                               // 00000000F7F0: D1CB00E8 07A20D08
	v_fma_f32 v233, v9, v6, v233                               // 00000000F7F8: D1CB00E9 07A60D09
	v_fma_f32 v234, v10, v6, v234                              // 00000000F800: D1CB00EA 07AA0D0A
	v_fma_f32 v235, v11, v6, v235                              // 00000000F808: D1CB00EB 07AE0D0B
	v_fma_f32 v244, v12, v6, v244                              // 00000000F810: D1CB00F4 07D20D0C
	v_fma_f32 v245, v13, v6, v245                              // 00000000F818: D1CB00F5 07D60D0D
	v_fma_f32 v246, v14, v6, v246                              // 00000000F820: D1CB00F6 07DA0D0E
	v_fma_f32 v247, v15, v6, v247                              // 00000000F828: D1CB00F7 07DE0D0F
	s_addk_i32 s80, 0x80                                       // 00000000F830: B7500080
	s_cmp_lt_i32 s80, s81                                      // 00000000F834: BF045150
	s_cbranch_scc0 label_427F                                  // 00000000F838: BF840EED
	s_waitcnt vmcnt(26) lgkmcnt(0)                             // 00000000F83C: BF8C407A
	v_mul_f32_dpp v4, v26, v39 row_newbcast:0 row_mask:0xf bank_mask:0xf// 00000000F840: 0A084EFA FF01501A
	v_mfma_f32_16x16x32_fp8_fp8 v[8:11], a[112:113], a[0:1], 0 // 00000000F848: D3F30008 1A020170
	buffer_load_dword v24, v22, s[32:35], 0 offen              // 00000000F850: E0501000 80081816
	buffer_load_dwordx4 a[48:51], v48, s[24:27], 0 offen       // 00000000F858: E05C1000 80863030
	v_mfma_f32_16x16x32_fp8_fp8 v[8:11], a[114:115], a[2:3], v[8:11]// 00000000F860: D3F30008 1C220572
	v_mfma_f32_16x16x32_fp8_fp8 v[8:11], a[116:117], a[4:5], v[8:11]// 00000000F868: D3F30008 1C220974
	v_mfma_f32_16x16x32_fp8_fp8 v[8:11], a[118:119], a[6:7], v[8:11]// 00000000F870: D3F30008 1C220D76
	v_mfma_f32_16x16x32_fp8_fp8 v[12:15], a[120:121], a[0:1], 0// 00000000F878: D3F3000C 1A020178
	buffer_load_dwordx4 a[52:55], v48, s[24:27], 0 offen offset:1024// 00000000F880: E05C1400 80863430
	v_mfma_f32_16x16x32_fp8_fp8 v[12:15], a[122:123], a[2:3], v[12:15]// 00000000F888: D3F3000C 1C32057A
	v_mfma_f32_16x16x32_fp8_fp8 v[12:15], a[124:125], a[4:5], v[12:15]// 00000000F890: D3F3000C 1C32097C
	v_mfma_f32_16x16x32_fp8_fp8 v[12:15], a[126:127], a[6:7], v[12:15]// 00000000F898: D3F3000C 1C320D7E
	v_fma_f32 v56, v8, v4, v56                                 // 00000000F8A0: D1CB0038 04E20908
	v_fma_f32 v57, v9, v4, v57                                 // 00000000F8A8: D1CB0039 04E60909
	v_fma_f32 v58, v10, v4, v58                                // 00000000F8B0: D1CB003A 04EA090A
	v_fma_f32 v59, v11, v4, v59                                // 00000000F8B8: D1CB003B 04EE090B
	v_mul_f32_dpp v6, v26, v39 row_newbcast:1 row_mask:0xf bank_mask:0xf// 00000000F8C0: 0A0C4EFA FF01511A
	v_mfma_f32_16x16x32_fp8_fp8 v[8:11], a[128:129], a[0:1], 0 // 00000000F8C8: D3F30008 1A020180
	buffer_load_dwordx4 a[56:59], v49, s[24:27], 0 offen       // 00000000F8D0: E05C1000 80863831
	v_mfma_f32_16x16x32_fp8_fp8 v[8:11], a[130:131], a[2:3], v[8:11]// 00000000F8D8: D3F30008 1C220582
	v_mfma_f32_16x16x32_fp8_fp8 v[8:11], a[132:133], a[4:5], v[8:11]// 00000000F8E0: D3F30008 1C220984
	v_mfma_f32_16x16x32_fp8_fp8 v[8:11], a[134:135], a[6:7], v[8:11]// 00000000F8E8: D3F30008 1C220D86
	v_fma_f32 v68, v12, v4, v68                                // 00000000F8F0: D1CB0044 0512090C
	v_fma_f32 v69, v13, v4, v69                                // 00000000F8F8: D1CB0045 0516090D
	v_fma_f32 v70, v14, v4, v70                                // 00000000F900: D1CB0046 051A090E
	v_fma_f32 v71, v15, v4, v71                                // 00000000F908: D1CB0047 051E090F
	v_mfma_f32_16x16x32_fp8_fp8 v[12:15], a[136:137], a[0:1], 0// 00000000F910: D3F3000C 1A020188
	buffer_load_dwordx4 a[60:63], v49, s[24:27], 0 offen offset:1024// 00000000F918: E05C1400 80863C31
	v_mfma_f32_16x16x32_fp8_fp8 v[12:15], a[138:139], a[2:3], v[12:15]// 00000000F920: D3F3000C 1C32058A
	v_mfma_f32_16x16x32_fp8_fp8 v[12:15], a[140:141], a[4:5], v[12:15]// 00000000F928: D3F3000C 1C32098C
	v_mfma_f32_16x16x32_fp8_fp8 v[12:15], a[142:143], a[6:7], v[12:15]// 00000000F930: D3F3000C 1C320D8E
	v_fma_f32 v80, v8, v6, v80                                 // 00000000F938: D1CB0050 05420D08
	v_fma_f32 v81, v9, v6, v81                                 // 00000000F940: D1CB0051 05460D09
	v_fma_f32 v82, v10, v6, v82                                // 00000000F948: D1CB0052 054A0D0A
	v_fma_f32 v83, v11, v6, v83                                // 00000000F950: D1CB0053 054E0D0B
	v_mul_f32_dpp v4, v26, v39 row_newbcast:2 row_mask:0xf bank_mask:0xf// 00000000F958: 0A084EFA FF01521A
	v_mfma_f32_16x16x32_fp8_fp8 v[8:11], a[144:145], a[0:1], 0 // 00000000F960: D3F30008 1A020190
	buffer_load_dwordx4 a[64:67], v50, s[24:27], 0 offen       // 00000000F968: E05C1000 80864032
	v_mfma_f32_16x16x32_fp8_fp8 v[8:11], a[146:147], a[2:3], v[8:11]// 00000000F970: D3F30008 1C220592
	v_mfma_f32_16x16x32_fp8_fp8 v[8:11], a[148:149], a[4:5], v[8:11]// 00000000F978: D3F30008 1C220994
	v_mfma_f32_16x16x32_fp8_fp8 v[8:11], a[150:151], a[6:7], v[8:11]// 00000000F980: D3F30008 1C220D96
	v_fma_f32 v92, v12, v6, v92                                // 00000000F988: D1CB005C 05720D0C
	v_fma_f32 v93, v13, v6, v93                                // 00000000F990: D1CB005D 05760D0D
	v_fma_f32 v94, v14, v6, v94                                // 00000000F998: D1CB005E 057A0D0E
	v_fma_f32 v95, v15, v6, v95                                // 00000000F9A0: D1CB005F 057E0D0F
	v_mfma_f32_16x16x32_fp8_fp8 v[12:15], a[152:153], a[0:1], 0// 00000000F9A8: D3F3000C 1A020198
	buffer_load_dwordx4 a[68:71], v50, s[24:27], 0 offen offset:1024// 00000000F9B0: E05C1400 80864432
	v_mfma_f32_16x16x32_fp8_fp8 v[12:15], a[154:155], a[2:3], v[12:15]// 00000000F9B8: D3F3000C 1C32059A
	v_mfma_f32_16x16x32_fp8_fp8 v[12:15], a[156:157], a[4:5], v[12:15]// 00000000F9C0: D3F3000C 1C32099C
	v_mfma_f32_16x16x32_fp8_fp8 v[12:15], a[158:159], a[6:7], v[12:15]// 00000000F9C8: D3F3000C 1C320D9E
	v_fma_f32 v104, v8, v4, v104                               // 00000000F9D0: D1CB0068 05A20908
	v_fma_f32 v105, v9, v4, v105                               // 00000000F9D8: D1CB0069 05A60909
	v_fma_f32 v106, v10, v4, v106                              // 00000000F9E0: D1CB006A 05AA090A
	v_fma_f32 v107, v11, v4, v107                              // 00000000F9E8: D1CB006B 05AE090B
	v_mul_f32_dpp v6, v26, v39 row_newbcast:3 row_mask:0xf bank_mask:0xf// 00000000F9F0: 0A0C4EFA FF01531A
	v_mfma_f32_16x16x32_fp8_fp8 v[8:11], a[160:161], a[0:1], 0 // 00000000F9F8: D3F30008 1A0201A0
	buffer_load_dwordx4 a[72:75], v51, s[24:27], 0 offen       // 00000000FA00: E05C1000 80864833
	v_mfma_f32_16x16x32_fp8_fp8 v[8:11], a[162:163], a[2:3], v[8:11]// 00000000FA08: D3F30008 1C2205A2
	v_mfma_f32_16x16x32_fp8_fp8 v[8:11], a[164:165], a[4:5], v[8:11]// 00000000FA10: D3F30008 1C2209A4
	v_mfma_f32_16x16x32_fp8_fp8 v[8:11], a[166:167], a[6:7], v[8:11]// 00000000FA18: D3F30008 1C220DA6
	v_fma_f32 v116, v12, v4, v116                              // 00000000FA20: D1CB0074 05D2090C
	v_fma_f32 v117, v13, v4, v117                              // 00000000FA28: D1CB0075 05D6090D
	v_fma_f32 v118, v14, v4, v118                              // 00000000FA30: D1CB0076 05DA090E
	v_fma_f32 v119, v15, v4, v119                              // 00000000FA38: D1CB0077 05DE090F
	v_mfma_f32_16x16x32_fp8_fp8 v[12:15], a[168:169], a[0:1], 0// 00000000FA40: D3F3000C 1A0201A8
	buffer_load_dwordx4 a[76:79], v51, s[24:27], 0 offen offset:1024// 00000000FA48: E05C1400 80864C33
	v_mfma_f32_16x16x32_fp8_fp8 v[12:15], a[170:171], a[2:3], v[12:15]// 00000000FA50: D3F3000C 1C3205AA
	v_mfma_f32_16x16x32_fp8_fp8 v[12:15], a[172:173], a[4:5], v[12:15]// 00000000FA58: D3F3000C 1C3209AC
	v_mfma_f32_16x16x32_fp8_fp8 v[12:15], a[174:175], a[6:7], v[12:15]// 00000000FA60: D3F3000C 1C320DAE
	v_fma_f32 v128, v8, v6, v128                               // 00000000FA68: D1CB0080 06020D08
	v_fma_f32 v129, v9, v6, v129                               // 00000000FA70: D1CB0081 06060D09
	v_fma_f32 v130, v10, v6, v130                              // 00000000FA78: D1CB0082 060A0D0A
	v_fma_f32 v131, v11, v6, v131                              // 00000000FA80: D1CB0083 060E0D0B
	v_mul_f32_dpp v4, v26, v40 row_newbcast:0 row_mask:0xf bank_mask:0xf// 00000000FA88: 0A0850FA FF01501A
	v_mfma_f32_16x16x32_fp8_fp8 v[8:11], a[112:113], a[8:9], 0 // 00000000FA90: D3F30008 1A021170
	buffer_load_dwordx4 a[80:83], v52, s[24:27], 0 offen       // 00000000FA98: E05C1000 80865034
	v_mfma_f32_16x16x32_fp8_fp8 v[8:11], a[114:115], a[10:11], v[8:11]// 00000000FAA0: D3F30008 1C221572
	v_mfma_f32_16x16x32_fp8_fp8 v[8:11], a[116:117], a[12:13], v[8:11]// 00000000FAA8: D3F30008 1C221974
	v_mfma_f32_16x16x32_fp8_fp8 v[8:11], a[118:119], a[14:15], v[8:11]// 00000000FAB0: D3F30008 1C221D76
	v_fma_f32 v140, v12, v6, v140                              // 00000000FAB8: D1CB008C 06320D0C
	v_fma_f32 v141, v13, v6, v141                              // 00000000FAC0: D1CB008D 06360D0D
	v_fma_f32 v142, v14, v6, v142                              // 00000000FAC8: D1CB008E 063A0D0E
	v_fma_f32 v143, v15, v6, v143                              // 00000000FAD0: D1CB008F 063E0D0F
	v_mfma_f32_16x16x32_fp8_fp8 v[12:15], a[120:121], a[8:9], 0// 00000000FAD8: D3F3000C 1A021178
	buffer_load_dwordx4 a[84:87], v52, s[24:27], 0 offen offset:1024// 00000000FAE0: E05C1400 80865434
	v_mfma_f32_16x16x32_fp8_fp8 v[12:15], a[122:123], a[10:11], v[12:15]// 00000000FAE8: D3F3000C 1C32157A
	v_mfma_f32_16x16x32_fp8_fp8 v[12:15], a[124:125], a[12:13], v[12:15]// 00000000FAF0: D3F3000C 1C32197C
	v_mfma_f32_16x16x32_fp8_fp8 v[12:15], a[126:127], a[14:15], v[12:15]// 00000000FAF8: D3F3000C 1C321D7E
	v_fma_f32 v60, v8, v4, v60                                 // 00000000FB00: D1CB003C 04F20908
	v_fma_f32 v61, v9, v4, v61                                 // 00000000FB08: D1CB003D 04F60909
	v_fma_f32 v62, v10, v4, v62                                // 00000000FB10: D1CB003E 04FA090A
	v_fma_f32 v63, v11, v4, v63                                // 00000000FB18: D1CB003F 04FE090B
	v_mul_f32_dpp v6, v26, v40 row_newbcast:1 row_mask:0xf bank_mask:0xf// 00000000FB20: 0A0C50FA FF01511A
	v_mfma_f32_16x16x32_fp8_fp8 v[8:11], a[128:129], a[8:9], 0 // 00000000FB28: D3F30008 1A021180
	buffer_load_dwordx4 a[88:91], v53, s[24:27], 0 offen       // 00000000FB30: E05C1000 80865835
	v_mfma_f32_16x16x32_fp8_fp8 v[8:11], a[130:131], a[10:11], v[8:11]// 00000000FB38: D3F30008 1C221582
	v_mfma_f32_16x16x32_fp8_fp8 v[8:11], a[132:133], a[12:13], v[8:11]// 00000000FB40: D3F30008 1C221984
	v_mfma_f32_16x16x32_fp8_fp8 v[8:11], a[134:135], a[14:15], v[8:11]// 00000000FB48: D3F30008 1C221D86
	v_fma_f32 v72, v12, v4, v72                                // 00000000FB50: D1CB0048 0522090C
	v_fma_f32 v73, v13, v4, v73                                // 00000000FB58: D1CB0049 0526090D
	v_fma_f32 v74, v14, v4, v74                                // 00000000FB60: D1CB004A 052A090E
	v_fma_f32 v75, v15, v4, v75                                // 00000000FB68: D1CB004B 052E090F
	v_mfma_f32_16x16x32_fp8_fp8 v[12:15], a[136:137], a[8:9], 0// 00000000FB70: D3F3000C 1A021188
	buffer_load_dwordx4 a[92:95], v53, s[24:27], 0 offen offset:1024// 00000000FB78: E05C1400 80865C35
	v_mfma_f32_16x16x32_fp8_fp8 v[12:15], a[138:139], a[10:11], v[12:15]// 00000000FB80: D3F3000C 1C32158A
	v_mfma_f32_16x16x32_fp8_fp8 v[12:15], a[140:141], a[12:13], v[12:15]// 00000000FB88: D3F3000C 1C32198C
	v_mfma_f32_16x16x32_fp8_fp8 v[12:15], a[142:143], a[14:15], v[12:15]// 00000000FB90: D3F3000C 1C321D8E
	v_fma_f32 v84, v8, v6, v84                                 // 00000000FB98: D1CB0054 05520D08
	v_fma_f32 v85, v9, v6, v85                                 // 00000000FBA0: D1CB0055 05560D09
	v_fma_f32 v86, v10, v6, v86                                // 00000000FBA8: D1CB0056 055A0D0A
	v_fma_f32 v87, v11, v6, v87                                // 00000000FBB0: D1CB0057 055E0D0B
	v_mul_f32_dpp v4, v26, v40 row_newbcast:2 row_mask:0xf bank_mask:0xf// 00000000FBB8: 0A0850FA FF01521A
	v_mfma_f32_16x16x32_fp8_fp8 v[8:11], a[144:145], a[8:9], 0 // 00000000FBC0: D3F30008 1A021190
	buffer_load_dwordx4 a[96:99], v54, s[24:27], 0 offen       // 00000000FBC8: E05C1000 80866036
	v_mfma_f32_16x16x32_fp8_fp8 v[8:11], a[146:147], a[10:11], v[8:11]// 00000000FBD0: D3F30008 1C221592
	v_mfma_f32_16x16x32_fp8_fp8 v[8:11], a[148:149], a[12:13], v[8:11]// 00000000FBD8: D3F30008 1C221994
	v_mfma_f32_16x16x32_fp8_fp8 v[8:11], a[150:151], a[14:15], v[8:11]// 00000000FBE0: D3F30008 1C221D96
	v_fma_f32 v96, v12, v6, v96                                // 00000000FBE8: D1CB0060 05820D0C
	v_fma_f32 v97, v13, v6, v97                                // 00000000FBF0: D1CB0061 05860D0D
	v_fma_f32 v98, v14, v6, v98                                // 00000000FBF8: D1CB0062 058A0D0E
	v_fma_f32 v99, v15, v6, v99                                // 00000000FC00: D1CB0063 058E0D0F
	v_mfma_f32_16x16x32_fp8_fp8 v[12:15], a[152:153], a[8:9], 0// 00000000FC08: D3F3000C 1A021198
	buffer_load_dwordx4 a[100:103], v54, s[24:27], 0 offen offset:1024// 00000000FC10: E05C1400 80866436
	v_mfma_f32_16x16x32_fp8_fp8 v[12:15], a[154:155], a[10:11], v[12:15]// 00000000FC18: D3F3000C 1C32159A
	v_mfma_f32_16x16x32_fp8_fp8 v[12:15], a[156:157], a[12:13], v[12:15]// 00000000FC20: D3F3000C 1C32199C
	v_mfma_f32_16x16x32_fp8_fp8 v[12:15], a[158:159], a[14:15], v[12:15]// 00000000FC28: D3F3000C 1C321D9E
	v_fma_f32 v108, v8, v4, v108                               // 00000000FC30: D1CB006C 05B20908
	v_fma_f32 v109, v9, v4, v109                               // 00000000FC38: D1CB006D 05B60909
	v_fma_f32 v110, v10, v4, v110                              // 00000000FC40: D1CB006E 05BA090A
	v_fma_f32 v111, v11, v4, v111                              // 00000000FC48: D1CB006F 05BE090B
	v_mul_f32_dpp v6, v26, v40 row_newbcast:3 row_mask:0xf bank_mask:0xf// 00000000FC50: 0A0C50FA FF01531A
	v_mfma_f32_16x16x32_fp8_fp8 v[8:11], a[160:161], a[8:9], 0 // 00000000FC58: D3F30008 1A0211A0
	buffer_load_dwordx4 a[104:107], v55, s[24:27], 0 offen     // 00000000FC60: E05C1000 80866837
	v_mfma_f32_16x16x32_fp8_fp8 v[8:11], a[162:163], a[10:11], v[8:11]// 00000000FC68: D3F30008 1C2215A2
	v_mfma_f32_16x16x32_fp8_fp8 v[8:11], a[164:165], a[12:13], v[8:11]// 00000000FC70: D3F30008 1C2219A4
	v_mfma_f32_16x16x32_fp8_fp8 v[8:11], a[166:167], a[14:15], v[8:11]// 00000000FC78: D3F30008 1C221DA6
	v_fma_f32 v120, v12, v4, v120                              // 00000000FC80: D1CB0078 05E2090C
	v_fma_f32 v121, v13, v4, v121                              // 00000000FC88: D1CB0079 05E6090D
	v_fma_f32 v122, v14, v4, v122                              // 00000000FC90: D1CB007A 05EA090E
	v_fma_f32 v123, v15, v4, v123                              // 00000000FC98: D1CB007B 05EE090F
	v_mfma_f32_16x16x32_fp8_fp8 v[12:15], a[168:169], a[8:9], 0// 00000000FCA0: D3F3000C 1A0211A8
	buffer_load_dwordx4 a[108:111], v55, s[24:27], 0 offen offset:1024// 00000000FCA8: E05C1400 80866C37
	buffer_load_dword v42, s[20:23], 0 offen lds               // 00000000FCB0: E0511000 8005002A
	s_add_u32 m0, 0x100, s49                                   // 00000000FCB8: 807C31FF 00000100
	v_mfma_f32_16x16x32_fp8_fp8 v[12:15], a[170:171], a[10:11], v[12:15]// 00000000FCC0: D3F3000C 1C3215AA
	v_mfma_f32_16x16x32_fp8_fp8 v[12:15], a[172:173], a[12:13], v[12:15]// 00000000FCC8: D3F3000C 1C3219AC
	buffer_load_dword v43, s[20:23], 0 offen lds               // 00000000FCD0: E0511000 8005002B
	s_add_u32 m0, 0x200, s49                                   // 00000000FCD8: 807C31FF 00000200
	v_mfma_f32_16x16x32_fp8_fp8 v[12:15], a[174:175], a[14:15], v[12:15]// 00000000FCE0: D3F3000C 1C321DAE
	v_fma_f32 v132, v8, v6, v132                               // 00000000FCE8: D1CB0084 06120D08
	v_fma_f32 v133, v9, v6, v133                               // 00000000FCF0: D1CB0085 06160D09
	v_fma_f32 v134, v10, v6, v134                              // 00000000FCF8: D1CB0086 061A0D0A
	v_fma_f32 v135, v11, v6, v135                              // 00000000FD00: D1CB0087 061E0D0B
	v_mul_f32_dpp v4, v26, v41 row_newbcast:0 row_mask:0xf bank_mask:0xf// 00000000FD08: 0A0852FA FF01501A
	v_mfma_f32_16x16x32_fp8_fp8 v[8:11], a[112:113], a[16:17], 0// 00000000FD10: D3F30008 1A022170
	buffer_load_dword v44, s[20:23], 0 offen lds               // 00000000FD18: E0511000 8005002C
	s_add_u32 m0, 0x300, s49                                   // 00000000FD20: 807C31FF 00000300
	v_mfma_f32_16x16x32_fp8_fp8 v[8:11], a[114:115], a[18:19], v[8:11]// 00000000FD28: D3F30008 1C222572
	v_mfma_f32_16x16x32_fp8_fp8 v[8:11], a[116:117], a[20:21], v[8:11]// 00000000FD30: D3F30008 1C222974
	buffer_load_dword v45, s[20:23], 0 offen lds               // 00000000FD38: E0511000 8005002D
	s_add_u32 m0, 0x400, s49                                   // 00000000FD40: 807C31FF 00000400
	v_mfma_f32_16x16x32_fp8_fp8 v[8:11], a[118:119], a[22:23], v[8:11]// 00000000FD48: D3F30008 1C222D76
	v_fma_f32 v144, v12, v6, v144                              // 00000000FD50: D1CB0090 06420D0C
	v_fma_f32 v145, v13, v6, v145                              // 00000000FD58: D1CB0091 06460D0D
	v_fma_f32 v146, v14, v6, v146                              // 00000000FD60: D1CB0092 064A0D0E
	v_fma_f32 v147, v15, v6, v147                              // 00000000FD68: D1CB0093 064E0D0F
	v_mfma_f32_16x16x32_fp8_fp8 v[12:15], a[120:121], a[16:17], 0// 00000000FD70: D3F3000C 1A022178
	buffer_load_dword v46, s[20:23], 0 offen lds               // 00000000FD78: E0511000 8005002E
	s_add_u32 m0, 0x500, s49                                   // 00000000FD80: 807C31FF 00000500
	v_mfma_f32_16x16x32_fp8_fp8 v[12:15], a[122:123], a[18:19], v[12:15]// 00000000FD88: D3F3000C 1C32257A
	v_mfma_f32_16x16x32_fp8_fp8 v[12:15], a[124:125], a[20:21], v[12:15]// 00000000FD90: D3F3000C 1C32297C
	buffer_load_dword v47, s[20:23], 0 offen lds               // 00000000FD98: E0511000 8005002F
	s_add_u32 m0, 0, s50                                       // 00000000FDA0: 807C3280
	v_mfma_f32_16x16x32_fp8_fp8 v[12:15], a[126:127], a[22:23], v[12:15]// 00000000FDA4: D3F3000C 1C322D7E
	v_fma_f32 v64, v8, v4, v64                                 // 00000000FDAC: D1CB0040 05020908
	v_fma_f32 v65, v9, v4, v65                                 // 00000000FDB4: D1CB0041 05060909
	v_fma_f32 v66, v10, v4, v66                                // 00000000FDBC: D1CB0042 050A090A
	v_fma_f32 v67, v11, v4, v67                                // 00000000FDC4: D1CB0043 050E090B
	v_mul_f32_dpp v6, v26, v41 row_newbcast:1 row_mask:0xf bank_mask:0xf// 00000000FDCC: 0A0C52FA FF01511A
	v_mfma_f32_16x16x32_fp8_fp8 v[8:11], a[128:129], a[16:17], 0// 00000000FDD4: D3F30008 1A022180
	buffer_load_dword v36, v30, s[28:31], 0 offen              // 00000000FDDC: E0501000 8007241E
	v_mfma_f32_16x16x32_fp8_fp8 v[8:11], a[130:131], a[18:19], v[8:11]// 00000000FDE4: D3F30008 1C222582
	v_mfma_f32_16x16x32_fp8_fp8 v[8:11], a[132:133], a[20:21], v[8:11]// 00000000FDEC: D3F30008 1C222984
	buffer_load_dword v37, v31, s[28:31], 0 offen              // 00000000FDF4: E0501000 8007251F
	v_mfma_f32_16x16x32_fp8_fp8 v[8:11], a[134:135], a[22:23], v[8:11]// 00000000FDFC: D3F30008 1C222D86
	v_fma_f32 v76, v12, v4, v76                                // 00000000FE04: D1CB004C 0532090C
	v_fma_f32 v77, v13, v4, v77                                // 00000000FE0C: D1CB004D 0536090D
	v_fma_f32 v78, v14, v4, v78                                // 00000000FE14: D1CB004E 053A090E
	v_fma_f32 v79, v15, v4, v79                                // 00000000FE1C: D1CB004F 053E090F
	v_mfma_f32_16x16x32_fp8_fp8 v[12:15], a[136:137], a[16:17], 0// 00000000FE24: D3F3000C 1A022188
	buffer_load_dword v38, v32, s[28:31], 0 offen              // 00000000FE2C: E0501000 80072620
	v_mfma_f32_16x16x32_fp8_fp8 v[12:15], a[138:139], a[18:19], v[12:15]// 00000000FE34: D3F3000C 1C32258A
	v_mfma_f32_16x16x32_fp8_fp8 v[12:15], a[140:141], a[20:21], v[12:15]// 00000000FE3C: D3F3000C 1C32298C
	v_mfma_f32_16x16x32_fp8_fp8 v[12:15], a[142:143], a[22:23], v[12:15]// 00000000FE44: D3F3000C 1C322D8E
	v_fma_f32 v88, v8, v6, v88                                 // 00000000FE4C: D1CB0058 05620D08
	v_fma_f32 v89, v9, v6, v89                                 // 00000000FE54: D1CB0059 05660D09
	v_fma_f32 v90, v10, v6, v90                                // 00000000FE5C: D1CB005A 056A0D0A
	v_fma_f32 v91, v11, v6, v91                                // 00000000FE64: D1CB005B 056E0D0B
	v_mul_f32_dpp v4, v26, v41 row_newbcast:2 row_mask:0xf bank_mask:0xf// 00000000FE6C: 0A0852FA FF01521A
	v_mfma_f32_16x16x32_fp8_fp8 v[8:11], a[144:145], a[16:17], 0// 00000000FE74: D3F30008 1A022190
	v_mfma_f32_16x16x32_fp8_fp8 v[8:11], a[146:147], a[18:19], v[8:11]// 00000000FE7C: D3F30008 1C222592
	v_mfma_f32_16x16x32_fp8_fp8 v[8:11], a[148:149], a[20:21], v[8:11]// 00000000FE84: D3F30008 1C222994
	v_mfma_f32_16x16x32_fp8_fp8 v[8:11], a[150:151], a[22:23], v[8:11]// 00000000FE8C: D3F30008 1C222D96
	v_fma_f32 v100, v12, v6, v100                              // 00000000FE94: D1CB0064 05920D0C
	v_fma_f32 v101, v13, v6, v101                              // 00000000FE9C: D1CB0065 05960D0D
	v_fma_f32 v102, v14, v6, v102                              // 00000000FEA4: D1CB0066 059A0D0E
	v_fma_f32 v103, v15, v6, v103                              // 00000000FEAC: D1CB0067 059E0D0F
	v_mfma_f32_16x16x32_fp8_fp8 v[12:15], a[152:153], a[16:17], 0// 00000000FEB4: D3F3000C 1A022198
	v_mfma_f32_16x16x32_fp8_fp8 v[12:15], a[154:155], a[18:19], v[12:15]// 00000000FEBC: D3F3000C 1C32259A
	v_mfma_f32_16x16x32_fp8_fp8 v[12:15], a[156:157], a[20:21], v[12:15]// 00000000FEC4: D3F3000C 1C32299C
	v_mfma_f32_16x16x32_fp8_fp8 v[12:15], a[158:159], a[22:23], v[12:15]// 00000000FECC: D3F3000C 1C322D9E
	v_fma_f32 v112, v8, v4, v112                               // 00000000FED4: D1CB0070 05C20908
	v_fma_f32 v113, v9, v4, v113                               // 00000000FEDC: D1CB0071 05C60909
	v_fma_f32 v114, v10, v4, v114                              // 00000000FEE4: D1CB0072 05CA090A
	v_fma_f32 v115, v11, v4, v115                              // 00000000FEEC: D1CB0073 05CE090B
	v_mul_f32_dpp v6, v26, v41 row_newbcast:3 row_mask:0xf bank_mask:0xf// 00000000FEF4: 0A0C52FA FF01531A
	v_mfma_f32_16x16x32_fp8_fp8 v[8:11], a[160:161], a[16:17], 0// 00000000FEFC: D3F30008 1A0221A0
	v_mfma_f32_16x16x32_fp8_fp8 v[8:11], a[162:163], a[18:19], v[8:11]// 00000000FF04: D3F30008 1C2225A2
	v_mfma_f32_16x16x32_fp8_fp8 v[8:11], a[164:165], a[20:21], v[8:11]// 00000000FF0C: D3F30008 1C2229A4
	v_mfma_f32_16x16x32_fp8_fp8 v[8:11], a[166:167], a[22:23], v[8:11]// 00000000FF14: D3F30008 1C222DA6
	v_fma_f32 v124, v12, v4, v124                              // 00000000FF1C: D1CB007C 05F2090C
	v_fma_f32 v125, v13, v4, v125                              // 00000000FF24: D1CB007D 05F6090D
	v_fma_f32 v126, v14, v4, v126                              // 00000000FF2C: D1CB007E 05FA090E
	v_fma_f32 v127, v15, v4, v127                              // 00000000FF34: D1CB007F 05FE090F
	v_mfma_f32_16x16x32_fp8_fp8 v[12:15], a[168:169], a[16:17], 0// 00000000FF3C: D3F3000C 1A0221A8
	v_mfma_f32_16x16x32_fp8_fp8 v[12:15], a[170:171], a[18:19], v[12:15]// 00000000FF44: D3F3000C 1C3225AA
	v_mfma_f32_16x16x32_fp8_fp8 v[12:15], a[172:173], a[20:21], v[12:15]// 00000000FF4C: D3F3000C 1C3229AC
	v_mfma_f32_16x16x32_fp8_fp8 v[12:15], a[174:175], a[22:23], v[12:15]// 00000000FF54: D3F3000C 1C322DAE
	v_fma_f32 v136, v8, v6, v136                               // 00000000FF5C: D1CB0088 06220D08
	v_fma_f32 v137, v9, v6, v137                               // 00000000FF64: D1CB0089 06260D09
	v_fma_f32 v138, v10, v6, v138                              // 00000000FF6C: D1CB008A 062A0D0A
	v_fma_f32 v139, v11, v6, v139                              // 00000000FF74: D1CB008B 062E0D0B
	v_fma_f32 v148, v12, v6, v148                              // 00000000FF7C: D1CB0094 06520D0C
	v_fma_f32 v149, v13, v6, v149                              // 00000000FF84: D1CB0095 06560D0D
	v_fma_f32 v150, v14, v6, v150                              // 00000000FF8C: D1CB0096 065A0D0E
	v_fma_f32 v151, v15, v6, v151                              // 00000000FF94: D1CB0097 065E0D0F
	s_waitcnt vmcnt(26)                                        // 00000000FF9C: BF8C4F7A
	s_barrier                                                  // 00000000FFA0: BF8A0000
	v_mul_f32_dpp v4, v29, v39 row_newbcast:0 row_mask:0xf bank_mask:0xf// 00000000FFA4: 0A084EFA FF01501D
	v_mfma_f32_16x16x32_fp8_fp8 v[8:11], a[176:177], a[0:1], 0 // 00000000FFAC: D3F30008 1A0201B0
	buffer_load_dword v27, v23, s[32:35], 0 offen              // 00000000FFB4: E0501000 80081B17
	buffer_load_dwordx4 a[112:115], v48, s[84:87], 0 offen     // 00000000FFBC: E05C1000 80957030
	v_mfma_f32_16x16x32_fp8_fp8 v[8:11], a[178:179], a[2:3], v[8:11]// 00000000FFC4: D3F30008 1C2205B2
	v_mfma_f32_16x16x32_fp8_fp8 v[8:11], a[180:181], a[4:5], v[8:11]// 00000000FFCC: D3F30008 1C2209B4
	ds_read_b128 a[24:27], v2                                  // 00000000FFD4: DBFE0000 18000002
	ds_read_b128 a[28:31], v2 offset:64                        // 00000000FFDC: DBFE0040 1C000002
	v_mfma_f32_16x16x32_fp8_fp8 v[8:11], a[182:183], a[6:7], v[8:11]// 00000000FFE4: D3F30008 1C220DB6
	v_mfma_f32_16x16x32_fp8_fp8 v[12:15], a[184:185], a[0:1], 0// 00000000FFEC: D3F3000C 1A0201B8
	buffer_load_dwordx4 a[116:119], v48, s[84:87], 0 offen offset:1024// 00000000FFF4: E05C1400 80957430
	v_mfma_f32_16x16x32_fp8_fp8 v[12:15], a[186:187], a[2:3], v[12:15]// 00000000FFFC: D3F3000C 1C3205BA
	v_mfma_f32_16x16x32_fp8_fp8 v[12:15], a[188:189], a[4:5], v[12:15]// 000000010004: D3F3000C 1C3209BC
	ds_read_b128 a[32:35], v2 offset:512                       // 00000001000C: DBFE0200 20000002
	ds_read_b128 a[36:39], v2 offset:576                       // 000000010014: DBFE0240 24000002
	v_mfma_f32_16x16x32_fp8_fp8 v[12:15], a[190:191], a[6:7], v[12:15]// 00000001001C: D3F3000C 1C320DBE
	v_fma_f32 v152, v8, v4, v152                               // 000000010024: D1CB0098 06620908
	v_fma_f32 v153, v9, v4, v153                               // 00000001002C: D1CB0099 06660909
	v_fma_f32 v154, v10, v4, v154                              // 000000010034: D1CB009A 066A090A
	v_fma_f32 v155, v11, v4, v155                              // 00000001003C: D1CB009B 066E090B
	v_mul_f32_dpp v6, v29, v39 row_newbcast:1 row_mask:0xf bank_mask:0xf// 000000010044: 0A0C4EFA FF01511D
	v_mfma_f32_16x16x32_fp8_fp8 v[8:11], a[192:193], a[0:1], 0 // 00000001004C: D3F30008 1A0201C0
	buffer_load_dwordx4 a[120:123], v49, s[84:87], 0 offen     // 000000010054: E05C1000 80957831
	v_mfma_f32_16x16x32_fp8_fp8 v[8:11], a[194:195], a[2:3], v[8:11]// 00000001005C: D3F30008 1C2205C2
	v_mfma_f32_16x16x32_fp8_fp8 v[8:11], a[196:197], a[4:5], v[8:11]// 000000010064: D3F30008 1C2209C4
	ds_read_b128 a[40:43], v2 offset:1024                      // 00000001006C: DBFE0400 28000002
	ds_read_b128 a[44:47], v2 offset:1088                      // 000000010074: DBFE0440 2C000002
	v_mfma_f32_16x16x32_fp8_fp8 v[8:11], a[198:199], a[6:7], v[8:11]// 00000001007C: D3F30008 1C220DC6
	v_fma_f32 v164, v12, v4, v164                              // 000000010084: D1CB00A4 0692090C
	v_fma_f32 v165, v13, v4, v165                              // 00000001008C: D1CB00A5 0696090D
	v_fma_f32 v166, v14, v4, v166                              // 000000010094: D1CB00A6 069A090E
	v_fma_f32 v167, v15, v4, v167                              // 00000001009C: D1CB00A7 069E090F
	v_mfma_f32_16x16x32_fp8_fp8 v[12:15], a[200:201], a[0:1], 0// 0000000100A4: D3F3000C 1A0201C8
	buffer_load_dwordx4 a[124:127], v49, s[84:87], 0 offen offset:1024// 0000000100AC: E05C1400 80957C31
	v_mfma_f32_16x16x32_fp8_fp8 v[12:15], a[202:203], a[2:3], v[12:15]// 0000000100B4: D3F3000C 1C3205CA
	v_mfma_f32_16x16x32_fp8_fp8 v[12:15], a[204:205], a[4:5], v[12:15]// 0000000100BC: D3F3000C 1C3209CC
	v_mfma_f32_16x16x32_fp8_fp8 v[12:15], a[206:207], a[6:7], v[12:15]// 0000000100C4: D3F3000C 1C320DCE
	v_fma_f32 v176, v8, v6, v176                               // 0000000100CC: D1CB00B0 06C20D08
	v_fma_f32 v177, v9, v6, v177                               // 0000000100D4: D1CB00B1 06C60D09
	v_fma_f32 v178, v10, v6, v178                              // 0000000100DC: D1CB00B2 06CA0D0A
	v_fma_f32 v179, v11, v6, v179                              // 0000000100E4: D1CB00B3 06CE0D0B
	v_mul_f32_dpp v4, v29, v39 row_newbcast:2 row_mask:0xf bank_mask:0xf// 0000000100EC: 0A084EFA FF01521D
	v_mfma_f32_16x16x32_fp8_fp8 v[8:11], a[208:209], a[0:1], 0 // 0000000100F4: D3F30008 1A0201D0
	buffer_load_dwordx4 a[128:131], v50, s[84:87], 0 offen     // 0000000100FC: E05C1000 80958032
	v_mfma_f32_16x16x32_fp8_fp8 v[8:11], a[210:211], a[2:3], v[8:11]// 000000010104: D3F30008 1C2205D2
	v_mfma_f32_16x16x32_fp8_fp8 v[8:11], a[212:213], a[4:5], v[8:11]// 00000001010C: D3F30008 1C2209D4
	v_mfma_f32_16x16x32_fp8_fp8 v[8:11], a[214:215], a[6:7], v[8:11]// 000000010114: D3F30008 1C220DD6
	v_fma_f32 v188, v12, v6, v188                              // 00000001011C: D1CB00BC 06F20D0C
	v_fma_f32 v189, v13, v6, v189                              // 000000010124: D1CB00BD 06F60D0D
	v_fma_f32 v190, v14, v6, v190                              // 00000001012C: D1CB00BE 06FA0D0E
	v_fma_f32 v191, v15, v6, v191                              // 000000010134: D1CB00BF 06FE0D0F
	v_mfma_f32_16x16x32_fp8_fp8 v[12:15], a[216:217], a[0:1], 0// 00000001013C: D3F3000C 1A0201D8
	buffer_load_dwordx4 a[132:135], v50, s[84:87], 0 offen offset:1024// 000000010144: E05C1400 80958432
	v_mfma_f32_16x16x32_fp8_fp8 v[12:15], a[218:219], a[2:3], v[12:15]// 00000001014C: D3F3000C 1C3205DA
	v_mfma_f32_16x16x32_fp8_fp8 v[12:15], a[220:221], a[4:5], v[12:15]// 000000010154: D3F3000C 1C3209DC
	v_mfma_f32_16x16x32_fp8_fp8 v[12:15], a[222:223], a[6:7], v[12:15]// 00000001015C: D3F3000C 1C320DDE
	v_fma_f32 v200, v8, v4, v200                               // 000000010164: D1CB00C8 07220908
	v_fma_f32 v201, v9, v4, v201                               // 00000001016C: D1CB00C9 07260909
	v_fma_f32 v202, v10, v4, v202                              // 000000010174: D1CB00CA 072A090A
	v_fma_f32 v203, v11, v4, v203                              // 00000001017C: D1CB00CB 072E090B
	v_mul_f32_dpp v6, v29, v39 row_newbcast:3 row_mask:0xf bank_mask:0xf// 000000010184: 0A0C4EFA FF01531D
	v_mfma_f32_16x16x32_fp8_fp8 v[8:11], a[224:225], a[0:1], 0 // 00000001018C: D3F30008 1A0201E0
	buffer_load_dwordx4 a[136:139], v51, s[84:87], 0 offen     // 000000010194: E05C1000 80958833
	v_mfma_f32_16x16x32_fp8_fp8 v[8:11], a[226:227], a[2:3], v[8:11]// 00000001019C: D3F30008 1C2205E2
	v_mfma_f32_16x16x32_fp8_fp8 v[8:11], a[228:229], a[4:5], v[8:11]// 0000000101A4: D3F30008 1C2209E4
	v_mfma_f32_16x16x32_fp8_fp8 v[8:11], a[230:231], a[6:7], v[8:11]// 0000000101AC: D3F30008 1C220DE6
	v_fma_f32 v212, v12, v4, v212                              // 0000000101B4: D1CB00D4 0752090C
	v_fma_f32 v213, v13, v4, v213                              // 0000000101BC: D1CB00D5 0756090D
	v_fma_f32 v214, v14, v4, v214                              // 0000000101C4: D1CB00D6 075A090E
	v_fma_f32 v215, v15, v4, v215                              // 0000000101CC: D1CB00D7 075E090F
	v_mfma_f32_16x16x32_fp8_fp8 v[12:15], a[232:233], a[0:1], 0// 0000000101D4: D3F3000C 1A0201E8
	buffer_load_dwordx4 a[140:143], v51, s[84:87], 0 offen offset:1024// 0000000101DC: E05C1400 80958C33
	v_mfma_f32_16x16x32_fp8_fp8 v[12:15], a[234:235], a[2:3], v[12:15]// 0000000101E4: D3F3000C 1C3205EA
	v_mfma_f32_16x16x32_fp8_fp8 v[12:15], a[236:237], a[4:5], v[12:15]// 0000000101EC: D3F3000C 1C3209EC
	v_mfma_f32_16x16x32_fp8_fp8 v[12:15], a[238:239], a[6:7], v[12:15]// 0000000101F4: D3F3000C 1C320DEE
	v_fma_f32 v224, v8, v6, v224                               // 0000000101FC: D1CB00E0 07820D08
	v_fma_f32 v225, v9, v6, v225                               // 000000010204: D1CB00E1 07860D09
	v_fma_f32 v226, v10, v6, v226                              // 00000001020C: D1CB00E2 078A0D0A
	v_fma_f32 v227, v11, v6, v227                              // 000000010214: D1CB00E3 078E0D0B
	v_mul_f32_dpp v4, v29, v40 row_newbcast:0 row_mask:0xf bank_mask:0xf// 00000001021C: 0A0850FA FF01501D
	v_mfma_f32_16x16x32_fp8_fp8 v[8:11], a[176:177], a[8:9], 0 // 000000010224: D3F30008 1A0211B0
	buffer_load_dwordx4 a[144:147], v52, s[84:87], 0 offen     // 00000001022C: E05C1000 80959034
	v_mfma_f32_16x16x32_fp8_fp8 v[8:11], a[178:179], a[10:11], v[8:11]// 000000010234: D3F30008 1C2215B2
	v_mfma_f32_16x16x32_fp8_fp8 v[8:11], a[180:181], a[12:13], v[8:11]// 00000001023C: D3F30008 1C2219B4
	v_mfma_f32_16x16x32_fp8_fp8 v[8:11], a[182:183], a[14:15], v[8:11]// 000000010244: D3F30008 1C221DB6
	v_fma_f32 v236, v12, v6, v236                              // 00000001024C: D1CB00EC 07B20D0C
	v_fma_f32 v237, v13, v6, v237                              // 000000010254: D1CB00ED 07B60D0D
	v_fma_f32 v238, v14, v6, v238                              // 00000001025C: D1CB00EE 07BA0D0E
	v_fma_f32 v239, v15, v6, v239                              // 000000010264: D1CB00EF 07BE0D0F
	v_mfma_f32_16x16x32_fp8_fp8 v[12:15], a[184:185], a[8:9], 0// 00000001026C: D3F3000C 1A0211B8
	buffer_load_dwordx4 a[148:151], v52, s[84:87], 0 offen offset:1024// 000000010274: E05C1400 80959434
	v_mfma_f32_16x16x32_fp8_fp8 v[12:15], a[186:187], a[10:11], v[12:15]// 00000001027C: D3F3000C 1C3215BA
	v_mfma_f32_16x16x32_fp8_fp8 v[12:15], a[188:189], a[12:13], v[12:15]// 000000010284: D3F3000C 1C3219BC
	v_mfma_f32_16x16x32_fp8_fp8 v[12:15], a[190:191], a[14:15], v[12:15]// 00000001028C: D3F3000C 1C321DBE
	v_fma_f32 v156, v8, v4, v156                               // 000000010294: D1CB009C 06720908
	v_fma_f32 v157, v9, v4, v157                               // 00000001029C: D1CB009D 06760909
	v_fma_f32 v158, v10, v4, v158                              // 0000000102A4: D1CB009E 067A090A
	v_fma_f32 v159, v11, v4, v159                              // 0000000102AC: D1CB009F 067E090B
	v_mul_f32_dpp v6, v29, v40 row_newbcast:1 row_mask:0xf bank_mask:0xf// 0000000102B4: 0A0C50FA FF01511D
	v_mfma_f32_16x16x32_fp8_fp8 v[8:11], a[192:193], a[8:9], 0 // 0000000102BC: D3F30008 1A0211C0
	buffer_load_dwordx4 a[152:155], v53, s[84:87], 0 offen     // 0000000102C4: E05C1000 80959835
	v_mfma_f32_16x16x32_fp8_fp8 v[8:11], a[194:195], a[10:11], v[8:11]// 0000000102CC: D3F30008 1C2215C2
	v_mfma_f32_16x16x32_fp8_fp8 v[8:11], a[196:197], a[12:13], v[8:11]// 0000000102D4: D3F30008 1C2219C4
	v_mfma_f32_16x16x32_fp8_fp8 v[8:11], a[198:199], a[14:15], v[8:11]// 0000000102DC: D3F30008 1C221DC6
	v_fma_f32 v168, v12, v4, v168                              // 0000000102E4: D1CB00A8 06A2090C
	v_fma_f32 v169, v13, v4, v169                              // 0000000102EC: D1CB00A9 06A6090D
	v_fma_f32 v170, v14, v4, v170                              // 0000000102F4: D1CB00AA 06AA090E
	v_fma_f32 v171, v15, v4, v171                              // 0000000102FC: D1CB00AB 06AE090F
	v_mfma_f32_16x16x32_fp8_fp8 v[12:15], a[200:201], a[8:9], 0// 000000010304: D3F3000C 1A0211C8
	buffer_load_dwordx4 a[156:159], v53, s[84:87], 0 offen offset:1024// 00000001030C: E05C1400 80959C35
	v_mfma_f32_16x16x32_fp8_fp8 v[12:15], a[202:203], a[10:11], v[12:15]// 000000010314: D3F3000C 1C3215CA
	v_mfma_f32_16x16x32_fp8_fp8 v[12:15], a[204:205], a[12:13], v[12:15]// 00000001031C: D3F3000C 1C3219CC
	v_mfma_f32_16x16x32_fp8_fp8 v[12:15], a[206:207], a[14:15], v[12:15]// 000000010324: D3F3000C 1C321DCE
	v_fma_f32 v180, v8, v6, v180                               // 00000001032C: D1CB00B4 06D20D08
	v_fma_f32 v181, v9, v6, v181                               // 000000010334: D1CB00B5 06D60D09
	v_fma_f32 v182, v10, v6, v182                              // 00000001033C: D1CB00B6 06DA0D0A
	v_fma_f32 v183, v11, v6, v183                              // 000000010344: D1CB00B7 06DE0D0B
	v_mul_f32_dpp v4, v29, v40 row_newbcast:2 row_mask:0xf bank_mask:0xf// 00000001034C: 0A0850FA FF01521D
	v_mfma_f32_16x16x32_fp8_fp8 v[8:11], a[208:209], a[8:9], 0 // 000000010354: D3F30008 1A0211D0
	buffer_load_dwordx4 a[160:163], v54, s[84:87], 0 offen     // 00000001035C: E05C1000 8095A036
	v_mfma_f32_16x16x32_fp8_fp8 v[8:11], a[210:211], a[10:11], v[8:11]// 000000010364: D3F30008 1C2215D2
	v_mfma_f32_16x16x32_fp8_fp8 v[8:11], a[212:213], a[12:13], v[8:11]// 00000001036C: D3F30008 1C2219D4
	v_mfma_f32_16x16x32_fp8_fp8 v[8:11], a[214:215], a[14:15], v[8:11]// 000000010374: D3F30008 1C221DD6
	v_fma_f32 v192, v12, v6, v192                              // 00000001037C: D1CB00C0 07020D0C
	v_fma_f32 v193, v13, v6, v193                              // 000000010384: D1CB00C1 07060D0D
	v_fma_f32 v194, v14, v6, v194                              // 00000001038C: D1CB00C2 070A0D0E
	v_fma_f32 v195, v15, v6, v195                              // 000000010394: D1CB00C3 070E0D0F
	v_mfma_f32_16x16x32_fp8_fp8 v[12:15], a[216:217], a[8:9], 0// 00000001039C: D3F3000C 1A0211D8
	buffer_load_dwordx4 a[164:167], v54, s[84:87], 0 offen offset:1024// 0000000103A4: E05C1400 8095A436
	v_mfma_f32_16x16x32_fp8_fp8 v[12:15], a[218:219], a[10:11], v[12:15]// 0000000103AC: D3F3000C 1C3215DA
	v_mfma_f32_16x16x32_fp8_fp8 v[12:15], a[220:221], a[12:13], v[12:15]// 0000000103B4: D3F3000C 1C3219DC
	v_mfma_f32_16x16x32_fp8_fp8 v[12:15], a[222:223], a[14:15], v[12:15]// 0000000103BC: D3F3000C 1C321DDE
	v_fma_f32 v204, v8, v4, v204                               // 0000000103C4: D1CB00CC 07320908
	v_fma_f32 v205, v9, v4, v205                               // 0000000103CC: D1CB00CD 07360909
	v_fma_f32 v206, v10, v4, v206                              // 0000000103D4: D1CB00CE 073A090A
	v_fma_f32 v207, v11, v4, v207                              // 0000000103DC: D1CB00CF 073E090B
	v_mul_f32_dpp v6, v29, v40 row_newbcast:3 row_mask:0xf bank_mask:0xf// 0000000103E4: 0A0C50FA FF01531D
	v_mfma_f32_16x16x32_fp8_fp8 v[8:11], a[224:225], a[8:9], 0 // 0000000103EC: D3F30008 1A0211E0
	buffer_load_dwordx4 a[168:171], v55, s[84:87], 0 offen     // 0000000103F4: E05C1000 8095A837
	v_mfma_f32_16x16x32_fp8_fp8 v[8:11], a[226:227], a[10:11], v[8:11]// 0000000103FC: D3F30008 1C2215E2
	v_mfma_f32_16x16x32_fp8_fp8 v[8:11], a[228:229], a[12:13], v[8:11]// 000000010404: D3F30008 1C2219E4
	v_mfma_f32_16x16x32_fp8_fp8 v[8:11], a[230:231], a[14:15], v[8:11]// 00000001040C: D3F30008 1C221DE6
	v_fma_f32 v216, v12, v4, v216                              // 000000010414: D1CB00D8 0762090C
	v_fma_f32 v217, v13, v4, v217                              // 00000001041C: D1CB00D9 0766090D
	v_fma_f32 v218, v14, v4, v218                              // 000000010424: D1CB00DA 076A090E
	v_fma_f32 v219, v15, v4, v219                              // 00000001042C: D1CB00DB 076E090F
	v_mfma_f32_16x16x32_fp8_fp8 v[12:15], a[232:233], a[8:9], 0// 000000010434: D3F3000C 1A0211E8
	buffer_load_dwordx4 a[172:175], v55, s[84:87], 0 offen offset:1024// 00000001043C: E05C1400 8095AC37
	v_mfma_f32_16x16x32_fp8_fp8 v[12:15], a[234:235], a[10:11], v[12:15]// 000000010444: D3F3000C 1C3215EA
	v_mfma_f32_16x16x32_fp8_fp8 v[12:15], a[236:237], a[12:13], v[12:15]// 00000001044C: D3F3000C 1C3219EC
	v_mfma_f32_16x16x32_fp8_fp8 v[12:15], a[238:239], a[14:15], v[12:15]// 000000010454: D3F3000C 1C321DEE
	v_fma_f32 v228, v8, v6, v228                               // 00000001045C: D1CB00E4 07920D08
	v_fma_f32 v229, v9, v6, v229                               // 000000010464: D1CB00E5 07960D09
	v_fma_f32 v230, v10, v6, v230                              // 00000001046C: D1CB00E6 079A0D0A
	v_fma_f32 v231, v11, v6, v231                              // 000000010474: D1CB00E7 079E0D0B
	v_mul_f32_dpp v4, v29, v41 row_newbcast:0 row_mask:0xf bank_mask:0xf// 00000001047C: 0A0852FA FF01501D
	v_mfma_f32_16x16x32_fp8_fp8 v[8:11], a[176:177], a[16:17], 0// 000000010484: D3F30008 1A0221B0
	v_mfma_f32_16x16x32_fp8_fp8 v[8:11], a[178:179], a[18:19], v[8:11]// 00000001048C: D3F30008 1C2225B2
	v_mfma_f32_16x16x32_fp8_fp8 v[8:11], a[180:181], a[20:21], v[8:11]// 000000010494: D3F30008 1C2229B4
	v_mfma_f32_16x16x32_fp8_fp8 v[8:11], a[182:183], a[22:23], v[8:11]// 00000001049C: D3F30008 1C222DB6
	v_fma_f32 v240, v12, v6, v240                              // 0000000104A4: D1CB00F0 07C20D0C
	v_fma_f32 v241, v13, v6, v241                              // 0000000104AC: D1CB00F1 07C60D0D
	v_fma_f32 v242, v14, v6, v242                              // 0000000104B4: D1CB00F2 07CA0D0E
	v_fma_f32 v243, v15, v6, v243                              // 0000000104BC: D1CB00F3 07CE0D0F
	v_mfma_f32_16x16x32_fp8_fp8 v[12:15], a[184:185], a[16:17], 0// 0000000104C4: D3F3000C 1A0221B8
	v_mfma_f32_16x16x32_fp8_fp8 v[12:15], a[186:187], a[18:19], v[12:15]// 0000000104CC: D3F3000C 1C3225BA
	v_mfma_f32_16x16x32_fp8_fp8 v[12:15], a[188:189], a[20:21], v[12:15]// 0000000104D4: D3F3000C 1C3229BC
	v_mfma_f32_16x16x32_fp8_fp8 v[12:15], a[190:191], a[22:23], v[12:15]// 0000000104DC: D3F3000C 1C322DBE
	v_fma_f32 v160, v8, v4, v160                               // 0000000104E4: D1CB00A0 06820908
	v_fma_f32 v161, v9, v4, v161                               // 0000000104EC: D1CB00A1 06860909
	v_fma_f32 v162, v10, v4, v162                              // 0000000104F4: D1CB00A2 068A090A
	v_fma_f32 v163, v11, v4, v163                              // 0000000104FC: D1CB00A3 068E090B
	v_mul_f32_dpp v6, v29, v41 row_newbcast:1 row_mask:0xf bank_mask:0xf// 000000010504: 0A0C52FA FF01511D
	v_mfma_f32_16x16x32_fp8_fp8 v[8:11], a[192:193], a[16:17], 0// 00000001050C: D3F30008 1A0221C0
	v_mfma_f32_16x16x32_fp8_fp8 v[8:11], a[194:195], a[18:19], v[8:11]// 000000010514: D3F30008 1C2225C2
	v_mfma_f32_16x16x32_fp8_fp8 v[8:11], a[196:197], a[20:21], v[8:11]// 00000001051C: D3F30008 1C2229C4
	v_mfma_f32_16x16x32_fp8_fp8 v[8:11], a[198:199], a[22:23], v[8:11]// 000000010524: D3F30008 1C222DC6
	v_fma_f32 v172, v12, v4, v172                              // 00000001052C: D1CB00AC 06B2090C
	v_fma_f32 v173, v13, v4, v173                              // 000000010534: D1CB00AD 06B6090D
	v_fma_f32 v174, v14, v4, v174                              // 00000001053C: D1CB00AE 06BA090E
	v_fma_f32 v175, v15, v4, v175                              // 000000010544: D1CB00AF 06BE090F
	v_mfma_f32_16x16x32_fp8_fp8 v[12:15], a[200:201], a[16:17], 0// 00000001054C: D3F3000C 1A0221C8
	v_mfma_f32_16x16x32_fp8_fp8 v[12:15], a[202:203], a[18:19], v[12:15]// 000000010554: D3F3000C 1C3225CA
	v_mfma_f32_16x16x32_fp8_fp8 v[12:15], a[204:205], a[20:21], v[12:15]// 00000001055C: D3F3000C 1C3229CC
	v_mfma_f32_16x16x32_fp8_fp8 v[12:15], a[206:207], a[22:23], v[12:15]// 000000010564: D3F3000C 1C322DCE
	v_fma_f32 v184, v8, v6, v184                               // 00000001056C: D1CB00B8 06E20D08
	v_fma_f32 v185, v9, v6, v185                               // 000000010574: D1CB00B9 06E60D09
	v_fma_f32 v186, v10, v6, v186                              // 00000001057C: D1CB00BA 06EA0D0A
	v_fma_f32 v187, v11, v6, v187                              // 000000010584: D1CB00BB 06EE0D0B
	v_mul_f32_dpp v4, v29, v41 row_newbcast:2 row_mask:0xf bank_mask:0xf// 00000001058C: 0A0852FA FF01521D
	v_mfma_f32_16x16x32_fp8_fp8 v[8:11], a[208:209], a[16:17], 0// 000000010594: D3F30008 1A0221D0
	v_mfma_f32_16x16x32_fp8_fp8 v[8:11], a[210:211], a[18:19], v[8:11]// 00000001059C: D3F30008 1C2225D2
	v_mfma_f32_16x16x32_fp8_fp8 v[8:11], a[212:213], a[20:21], v[8:11]// 0000000105A4: D3F30008 1C2229D4
	v_mfma_f32_16x16x32_fp8_fp8 v[8:11], a[214:215], a[22:23], v[8:11]// 0000000105AC: D3F30008 1C222DD6
	v_fma_f32 v196, v12, v6, v196                              // 0000000105B4: D1CB00C4 07120D0C
	v_fma_f32 v197, v13, v6, v197                              // 0000000105BC: D1CB00C5 07160D0D
	v_fma_f32 v198, v14, v6, v198                              // 0000000105C4: D1CB00C6 071A0D0E
	v_fma_f32 v199, v15, v6, v199                              // 0000000105CC: D1CB00C7 071E0D0F
	v_mfma_f32_16x16x32_fp8_fp8 v[12:15], a[216:217], a[16:17], 0// 0000000105D4: D3F3000C 1A0221D8
	v_mfma_f32_16x16x32_fp8_fp8 v[12:15], a[218:219], a[18:19], v[12:15]// 0000000105DC: D3F3000C 1C3225DA
	v_mfma_f32_16x16x32_fp8_fp8 v[12:15], a[220:221], a[20:21], v[12:15]// 0000000105E4: D3F3000C 1C3229DC
	v_mfma_f32_16x16x32_fp8_fp8 v[12:15], a[222:223], a[22:23], v[12:15]// 0000000105EC: D3F3000C 1C322DDE
	v_fma_f32 v208, v8, v4, v208                               // 0000000105F4: D1CB00D0 07420908
	v_fma_f32 v209, v9, v4, v209                               // 0000000105FC: D1CB00D1 07460909
	v_fma_f32 v210, v10, v4, v210                              // 000000010604: D1CB00D2 074A090A
	v_fma_f32 v211, v11, v4, v211                              // 00000001060C: D1CB00D3 074E090B
	v_mul_f32_dpp v6, v29, v41 row_newbcast:3 row_mask:0xf bank_mask:0xf// 000000010614: 0A0C52FA FF01531D
	v_mfma_f32_16x16x32_fp8_fp8 v[8:11], a[224:225], a[16:17], 0// 00000001061C: D3F30008 1A0221E0
	s_add_u32 s60, 0x180, s80                                  // 000000010624: 803C50FF 00000180
	s_cmp_lt_u32 s60, s81                                      // 00000001062C: BF0A513C
	s_cselect_b32 s57, s57, 0                                  // 000000010630: 85398039
	s_cselect_b32 s3, s3, 0                                    // 000000010634: 85038003
	v_mfma_f32_16x16x32_fp8_fp8 v[8:11], a[226:227], a[18:19], v[8:11]// 000000010638: D3F30008 1C2225E2
	s_add_u32 s60, 0x100, s80                                  // 000000010640: 803C50FF 00000100
	s_cmp_lt_u32 s60, s81                                      // 000000010648: BF0A513C
	s_cselect_b32 s58, s58, 0                                  // 00000001064C: 853A803A
	v_mfma_f32_16x16x32_fp8_fp8 v[8:11], a[228:229], a[20:21], v[8:11]// 000000010650: D3F30008 1C2229E4
	s_add_u32 s60, 0x100, s80                                  // 000000010658: 803C50FF 00000100
	s_cmp_lt_u32 s60, s81                                      // 000000010660: BF0A513C
	s_cselect_b32 s83, s83, 0                                  // 000000010664: 85538053
	s_cselect_b32 s4, s4, 0                                    // 000000010668: 85048004
	v_mfma_f32_16x16x32_fp8_fp8 v[8:11], a[230:231], a[22:23], v[8:11]// 00000001066C: D3F30008 1C222DE6
	s_add_u32 s24, s58, s24                                    // 000000010674: 8018183A
	s_addc_u32 s25, 0, s25                                     // 000000010678: 82191980
	v_fma_f32 v220, v12, v4, v220                              // 00000001067C: D1CB00DC 0772090C
	v_fma_f32 v221, v13, v4, v221                              // 000000010684: D1CB00DD 0776090D
	v_fma_f32 v222, v14, v4, v222                              // 00000001068C: D1CB00DE 077A090E
	v_fma_f32 v223, v15, v4, v223                              // 000000010694: D1CB00DF 077E090F
	v_mfma_f32_16x16x32_fp8_fp8 v[12:15], a[232:233], a[16:17], 0// 00000001069C: D3F3000C 1A0221E8
	s_add_u32 s20, s57, s20                                    // 0000000106A4: 80141439
	s_addc_u32 s21, 0, s21                                     // 0000000106A8: 82151580
	s_add_u32 s28, s3, s28                                     // 0000000106AC: 801C1C03
	s_addc_u32 s29, 0, s29                                     // 0000000106B0: 821D1D80
	v_mfma_f32_16x16x32_fp8_fp8 v[12:15], a[234:235], a[18:19], v[12:15]// 0000000106B4: D3F3000C 1C3225EA
	s_add_u32 s84, s83, s84                                    // 0000000106BC: 80545453
	s_addc_u32 s85, 0, s85                                     // 0000000106C0: 82555580
	v_mfma_f32_16x16x32_fp8_fp8 v[12:15], a[236:237], a[20:21], v[12:15]// 0000000106C4: D3F3000C 1C3229EC
	s_add_u32 s32, s4, s32                                     // 0000000106CC: 80202004
	s_addc_u32 s33, 0, s33                                     // 0000000106D0: 82212180
	v_mfma_f32_16x16x32_fp8_fp8 v[12:15], a[238:239], a[22:23], v[12:15]// 0000000106D4: D3F3000C 1C322DEE
	v_fma_f32 v232, v8, v6, v232                               // 0000000106DC: D1CB00E8 07A20D08
	v_fma_f32 v233, v9, v6, v233                               // 0000000106E4: D1CB00E9 07A60D09
	v_fma_f32 v234, v10, v6, v234                              // 0000000106EC: D1CB00EA 07AA0D0A
	v_fma_f32 v235, v11, v6, v235                              // 0000000106F4: D1CB00EB 07AE0D0B
	v_fma_f32 v244, v12, v6, v244                              // 0000000106FC: D1CB00F4 07D20D0C
	v_fma_f32 v245, v13, v6, v245                              // 000000010704: D1CB00F5 07D60D0D
	v_fma_f32 v246, v14, v6, v246                              // 00000001070C: D1CB00F6 07DA0D0E
	v_fma_f32 v247, v15, v6, v247                              // 000000010714: D1CB00F7 07DE0D0F
	s_addk_i32 s80, 0x80                                       // 00000001071C: B7500080
	s_cmp_lt_i32 s80, s81                                      // 000000010720: BF045150
	s_cbranch_scc0 label_427F                                  // 000000010724: BF840B32
	s_waitcnt vmcnt(26) lgkmcnt(0)                             // 000000010728: BF8C407A
	v_mul_f32_dpp v4, v24, v33 row_newbcast:0 row_mask:0xf bank_mask:0xf// 00000001072C: 0A0842FA FF015018
	v_mfma_f32_16x16x32_fp8_fp8 v[8:11], a[48:49], a[24:25], 0 // 000000010734: D3F30008 1A023130
	buffer_load_dword v25, v22, s[32:35], 0 offen              // 00000001073C: E0501000 80081916
	buffer_load_dwordx4 a[176:179], v48, s[24:27], 0 offen     // 000000010744: E05C1000 8086B030
	v_mfma_f32_16x16x32_fp8_fp8 v[8:11], a[50:51], a[26:27], v[8:11]// 00000001074C: D3F30008 1C223532
	v_mfma_f32_16x16x32_fp8_fp8 v[8:11], a[52:53], a[28:29], v[8:11]// 000000010754: D3F30008 1C223934
	v_mfma_f32_16x16x32_fp8_fp8 v[8:11], a[54:55], a[30:31], v[8:11]// 00000001075C: D3F30008 1C223D36
	v_mfma_f32_16x16x32_fp8_fp8 v[12:15], a[56:57], a[24:25], 0// 000000010764: D3F3000C 1A023138
	buffer_load_dwordx4 a[180:183], v48, s[24:27], 0 offen offset:1024// 00000001076C: E05C1400 8086B430
	v_mfma_f32_16x16x32_fp8_fp8 v[12:15], a[58:59], a[26:27], v[12:15]// 000000010774: D3F3000C 1C32353A
	v_mfma_f32_16x16x32_fp8_fp8 v[12:15], a[60:61], a[28:29], v[12:15]// 00000001077C: D3F3000C 1C32393C
	v_mfma_f32_16x16x32_fp8_fp8 v[12:15], a[62:63], a[30:31], v[12:15]// 000000010784: D3F3000C 1C323D3E
	v_fma_f32 v56, v8, v4, v56                                 // 00000001078C: D1CB0038 04E20908
	v_fma_f32 v57, v9, v4, v57                                 // 000000010794: D1CB0039 04E60909
	v_fma_f32 v58, v10, v4, v58                                // 00000001079C: D1CB003A 04EA090A
	v_fma_f32 v59, v11, v4, v59                                // 0000000107A4: D1CB003B 04EE090B
	v_mul_f32_dpp v6, v24, v33 row_newbcast:1 row_mask:0xf bank_mask:0xf// 0000000107AC: 0A0C42FA FF015118
	v_mfma_f32_16x16x32_fp8_fp8 v[8:11], a[64:65], a[24:25], 0 // 0000000107B4: D3F30008 1A023140
	buffer_load_dwordx4 a[184:187], v49, s[24:27], 0 offen     // 0000000107BC: E05C1000 8086B831
	v_mfma_f32_16x16x32_fp8_fp8 v[8:11], a[66:67], a[26:27], v[8:11]// 0000000107C4: D3F30008 1C223542
	v_mfma_f32_16x16x32_fp8_fp8 v[8:11], a[68:69], a[28:29], v[8:11]// 0000000107CC: D3F30008 1C223944
	v_mfma_f32_16x16x32_fp8_fp8 v[8:11], a[70:71], a[30:31], v[8:11]// 0000000107D4: D3F30008 1C223D46
	v_fma_f32 v68, v12, v4, v68                                // 0000000107DC: D1CB0044 0512090C
	v_fma_f32 v69, v13, v4, v69                                // 0000000107E4: D1CB0045 0516090D
	v_fma_f32 v70, v14, v4, v70                                // 0000000107EC: D1CB0046 051A090E
	v_fma_f32 v71, v15, v4, v71                                // 0000000107F4: D1CB0047 051E090F
	v_mfma_f32_16x16x32_fp8_fp8 v[12:15], a[72:73], a[24:25], 0// 0000000107FC: D3F3000C 1A023148
	buffer_load_dwordx4 a[188:191], v49, s[24:27], 0 offen offset:1024// 000000010804: E05C1400 8086BC31
	v_mfma_f32_16x16x32_fp8_fp8 v[12:15], a[74:75], a[26:27], v[12:15]// 00000001080C: D3F3000C 1C32354A
	v_mfma_f32_16x16x32_fp8_fp8 v[12:15], a[76:77], a[28:29], v[12:15]// 000000010814: D3F3000C 1C32394C
	v_mfma_f32_16x16x32_fp8_fp8 v[12:15], a[78:79], a[30:31], v[12:15]// 00000001081C: D3F3000C 1C323D4E
	v_fma_f32 v80, v8, v6, v80                                 // 000000010824: D1CB0050 05420D08
	v_fma_f32 v81, v9, v6, v81                                 // 00000001082C: D1CB0051 05460D09
	v_fma_f32 v82, v10, v6, v82                                // 000000010834: D1CB0052 054A0D0A
	v_fma_f32 v83, v11, v6, v83                                // 00000001083C: D1CB0053 054E0D0B
	v_mul_f32_dpp v4, v24, v33 row_newbcast:2 row_mask:0xf bank_mask:0xf// 000000010844: 0A0842FA FF015218
	v_mfma_f32_16x16x32_fp8_fp8 v[8:11], a[80:81], a[24:25], 0 // 00000001084C: D3F30008 1A023150
	buffer_load_dwordx4 a[192:195], v50, s[24:27], 0 offen     // 000000010854: E05C1000 8086C032
	v_mfma_f32_16x16x32_fp8_fp8 v[8:11], a[82:83], a[26:27], v[8:11]// 00000001085C: D3F30008 1C223552
	v_mfma_f32_16x16x32_fp8_fp8 v[8:11], a[84:85], a[28:29], v[8:11]// 000000010864: D3F30008 1C223954
	v_mfma_f32_16x16x32_fp8_fp8 v[8:11], a[86:87], a[30:31], v[8:11]// 00000001086C: D3F30008 1C223D56
	v_fma_f32 v92, v12, v6, v92                                // 000000010874: D1CB005C 05720D0C
	v_fma_f32 v93, v13, v6, v93                                // 00000001087C: D1CB005D 05760D0D
	v_fma_f32 v94, v14, v6, v94                                // 000000010884: D1CB005E 057A0D0E
	v_fma_f32 v95, v15, v6, v95                                // 00000001088C: D1CB005F 057E0D0F
	v_mfma_f32_16x16x32_fp8_fp8 v[12:15], a[88:89], a[24:25], 0// 000000010894: D3F3000C 1A023158
	buffer_load_dwordx4 a[196:199], v50, s[24:27], 0 offen offset:1024// 00000001089C: E05C1400 8086C432
	v_mfma_f32_16x16x32_fp8_fp8 v[12:15], a[90:91], a[26:27], v[12:15]// 0000000108A4: D3F3000C 1C32355A
	v_mfma_f32_16x16x32_fp8_fp8 v[12:15], a[92:93], a[28:29], v[12:15]// 0000000108AC: D3F3000C 1C32395C
	v_mfma_f32_16x16x32_fp8_fp8 v[12:15], a[94:95], a[30:31], v[12:15]// 0000000108B4: D3F3000C 1C323D5E
	v_fma_f32 v104, v8, v4, v104                               // 0000000108BC: D1CB0068 05A20908
	v_fma_f32 v105, v9, v4, v105                               // 0000000108C4: D1CB0069 05A60909
	v_fma_f32 v106, v10, v4, v106                              // 0000000108CC: D1CB006A 05AA090A
	v_fma_f32 v107, v11, v4, v107                              // 0000000108D4: D1CB006B 05AE090B
	v_mul_f32_dpp v6, v24, v33 row_newbcast:3 row_mask:0xf bank_mask:0xf// 0000000108DC: 0A0C42FA FF015318
	v_mfma_f32_16x16x32_fp8_fp8 v[8:11], a[96:97], a[24:25], 0 // 0000000108E4: D3F30008 1A023160
	buffer_load_dwordx4 a[200:203], v51, s[24:27], 0 offen     // 0000000108EC: E05C1000 8086C833
	v_mfma_f32_16x16x32_fp8_fp8 v[8:11], a[98:99], a[26:27], v[8:11]// 0000000108F4: D3F30008 1C223562
	v_mfma_f32_16x16x32_fp8_fp8 v[8:11], a[100:101], a[28:29], v[8:11]// 0000000108FC: D3F30008 1C223964
	v_mfma_f32_16x16x32_fp8_fp8 v[8:11], a[102:103], a[30:31], v[8:11]// 000000010904: D3F30008 1C223D66
	v_fma_f32 v116, v12, v4, v116                              // 00000001090C: D1CB0074 05D2090C
	v_fma_f32 v117, v13, v4, v117                              // 000000010914: D1CB0075 05D6090D
	v_fma_f32 v118, v14, v4, v118                              // 00000001091C: D1CB0076 05DA090E
	v_fma_f32 v119, v15, v4, v119                              // 000000010924: D1CB0077 05DE090F
	v_mfma_f32_16x16x32_fp8_fp8 v[12:15], a[104:105], a[24:25], 0// 00000001092C: D3F3000C 1A023168
	buffer_load_dwordx4 a[204:207], v51, s[24:27], 0 offen offset:1024// 000000010934: E05C1400 8086CC33
	v_mfma_f32_16x16x32_fp8_fp8 v[12:15], a[106:107], a[26:27], v[12:15]// 00000001093C: D3F3000C 1C32356A
	v_mfma_f32_16x16x32_fp8_fp8 v[12:15], a[108:109], a[28:29], v[12:15]// 000000010944: D3F3000C 1C32396C
	v_mfma_f32_16x16x32_fp8_fp8 v[12:15], a[110:111], a[30:31], v[12:15]// 00000001094C: D3F3000C 1C323D6E
	v_fma_f32 v128, v8, v6, v128                               // 000000010954: D1CB0080 06020D08
	v_fma_f32 v129, v9, v6, v129                               // 00000001095C: D1CB0081 06060D09
	v_fma_f32 v130, v10, v6, v130                              // 000000010964: D1CB0082 060A0D0A
	v_fma_f32 v131, v11, v6, v131                              // 00000001096C: D1CB0083 060E0D0B
	v_mul_f32_dpp v4, v24, v34 row_newbcast:0 row_mask:0xf bank_mask:0xf// 000000010974: 0A0844FA FF015018
	v_mfma_f32_16x16x32_fp8_fp8 v[8:11], a[48:49], a[32:33], 0 // 00000001097C: D3F30008 1A024130
	buffer_load_dwordx4 a[208:211], v52, s[24:27], 0 offen     // 000000010984: E05C1000 8086D034
	v_mfma_f32_16x16x32_fp8_fp8 v[8:11], a[50:51], a[34:35], v[8:11]// 00000001098C: D3F30008 1C224532
	v_mfma_f32_16x16x32_fp8_fp8 v[8:11], a[52:53], a[36:37], v[8:11]// 000000010994: D3F30008 1C224934
	v_mfma_f32_16x16x32_fp8_fp8 v[8:11], a[54:55], a[38:39], v[8:11]// 00000001099C: D3F30008 1C224D36
	v_fma_f32 v140, v12, v6, v140                              // 0000000109A4: D1CB008C 06320D0C
	v_fma_f32 v141, v13, v6, v141                              // 0000000109AC: D1CB008D 06360D0D
	v_fma_f32 v142, v14, v6, v142                              // 0000000109B4: D1CB008E 063A0D0E
	v_fma_f32 v143, v15, v6, v143                              // 0000000109BC: D1CB008F 063E0D0F
	v_mfma_f32_16x16x32_fp8_fp8 v[12:15], a[56:57], a[32:33], 0// 0000000109C4: D3F3000C 1A024138
	buffer_load_dwordx4 a[212:215], v52, s[24:27], 0 offen offset:1024// 0000000109CC: E05C1400 8086D434
	v_mfma_f32_16x16x32_fp8_fp8 v[12:15], a[58:59], a[34:35], v[12:15]// 0000000109D4: D3F3000C 1C32453A
	v_mfma_f32_16x16x32_fp8_fp8 v[12:15], a[60:61], a[36:37], v[12:15]// 0000000109DC: D3F3000C 1C32493C
	v_mfma_f32_16x16x32_fp8_fp8 v[12:15], a[62:63], a[38:39], v[12:15]// 0000000109E4: D3F3000C 1C324D3E
	v_fma_f32 v60, v8, v4, v60                                 // 0000000109EC: D1CB003C 04F20908
	v_fma_f32 v61, v9, v4, v61                                 // 0000000109F4: D1CB003D 04F60909
	v_fma_f32 v62, v10, v4, v62                                // 0000000109FC: D1CB003E 04FA090A
	v_fma_f32 v63, v11, v4, v63                                // 000000010A04: D1CB003F 04FE090B
	v_mul_f32_dpp v6, v24, v34 row_newbcast:1 row_mask:0xf bank_mask:0xf// 000000010A0C: 0A0C44FA FF015118
	v_mfma_f32_16x16x32_fp8_fp8 v[8:11], a[64:65], a[32:33], 0 // 000000010A14: D3F30008 1A024140
	buffer_load_dwordx4 a[216:219], v53, s[24:27], 0 offen     // 000000010A1C: E05C1000 8086D835
	v_mfma_f32_16x16x32_fp8_fp8 v[8:11], a[66:67], a[34:35], v[8:11]// 000000010A24: D3F30008 1C224542
	v_mfma_f32_16x16x32_fp8_fp8 v[8:11], a[68:69], a[36:37], v[8:11]// 000000010A2C: D3F30008 1C224944
	v_mfma_f32_16x16x32_fp8_fp8 v[8:11], a[70:71], a[38:39], v[8:11]// 000000010A34: D3F30008 1C224D46
	v_fma_f32 v72, v12, v4, v72                                // 000000010A3C: D1CB0048 0522090C
	v_fma_f32 v73, v13, v4, v73                                // 000000010A44: D1CB0049 0526090D
	v_fma_f32 v74, v14, v4, v74                                // 000000010A4C: D1CB004A 052A090E
	v_fma_f32 v75, v15, v4, v75                                // 000000010A54: D1CB004B 052E090F
	v_mfma_f32_16x16x32_fp8_fp8 v[12:15], a[72:73], a[32:33], 0// 000000010A5C: D3F3000C 1A024148
	buffer_load_dwordx4 a[220:223], v53, s[24:27], 0 offen offset:1024// 000000010A64: E05C1400 8086DC35
	v_mfma_f32_16x16x32_fp8_fp8 v[12:15], a[74:75], a[34:35], v[12:15]// 000000010A6C: D3F3000C 1C32454A
	v_mfma_f32_16x16x32_fp8_fp8 v[12:15], a[76:77], a[36:37], v[12:15]// 000000010A74: D3F3000C 1C32494C
	v_mfma_f32_16x16x32_fp8_fp8 v[12:15], a[78:79], a[38:39], v[12:15]// 000000010A7C: D3F3000C 1C324D4E
	v_fma_f32 v84, v8, v6, v84                                 // 000000010A84: D1CB0054 05520D08
	v_fma_f32 v85, v9, v6, v85                                 // 000000010A8C: D1CB0055 05560D09
	v_fma_f32 v86, v10, v6, v86                                // 000000010A94: D1CB0056 055A0D0A
	v_fma_f32 v87, v11, v6, v87                                // 000000010A9C: D1CB0057 055E0D0B
	v_mul_f32_dpp v4, v24, v34 row_newbcast:2 row_mask:0xf bank_mask:0xf// 000000010AA4: 0A0844FA FF015218
	v_mfma_f32_16x16x32_fp8_fp8 v[8:11], a[80:81], a[32:33], 0 // 000000010AAC: D3F30008 1A024150
	buffer_load_dwordx4 a[224:227], v54, s[24:27], 0 offen     // 000000010AB4: E05C1000 8086E036
	v_mfma_f32_16x16x32_fp8_fp8 v[8:11], a[82:83], a[34:35], v[8:11]// 000000010ABC: D3F30008 1C224552
	v_mfma_f32_16x16x32_fp8_fp8 v[8:11], a[84:85], a[36:37], v[8:11]// 000000010AC4: D3F30008 1C224954
	v_mfma_f32_16x16x32_fp8_fp8 v[8:11], a[86:87], a[38:39], v[8:11]// 000000010ACC: D3F30008 1C224D56
	v_fma_f32 v96, v12, v6, v96                                // 000000010AD4: D1CB0060 05820D0C
	v_fma_f32 v97, v13, v6, v97                                // 000000010ADC: D1CB0061 05860D0D
	v_fma_f32 v98, v14, v6, v98                                // 000000010AE4: D1CB0062 058A0D0E
	v_fma_f32 v99, v15, v6, v99                                // 000000010AEC: D1CB0063 058E0D0F
	v_mfma_f32_16x16x32_fp8_fp8 v[12:15], a[88:89], a[32:33], 0// 000000010AF4: D3F3000C 1A024158
	buffer_load_dwordx4 a[228:231], v54, s[24:27], 0 offen offset:1024// 000000010AFC: E05C1400 8086E436
	v_mfma_f32_16x16x32_fp8_fp8 v[12:15], a[90:91], a[34:35], v[12:15]// 000000010B04: D3F3000C 1C32455A
	v_mfma_f32_16x16x32_fp8_fp8 v[12:15], a[92:93], a[36:37], v[12:15]// 000000010B0C: D3F3000C 1C32495C
	v_mfma_f32_16x16x32_fp8_fp8 v[12:15], a[94:95], a[38:39], v[12:15]// 000000010B14: D3F3000C 1C324D5E
	v_fma_f32 v108, v8, v4, v108                               // 000000010B1C: D1CB006C 05B20908
	v_fma_f32 v109, v9, v4, v109                               // 000000010B24: D1CB006D 05B60909
	v_fma_f32 v110, v10, v4, v110                              // 000000010B2C: D1CB006E 05BA090A
	v_fma_f32 v111, v11, v4, v111                              // 000000010B34: D1CB006F 05BE090B
	v_mul_f32_dpp v6, v24, v34 row_newbcast:3 row_mask:0xf bank_mask:0xf// 000000010B3C: 0A0C44FA FF015318
	v_mfma_f32_16x16x32_fp8_fp8 v[8:11], a[96:97], a[32:33], 0 // 000000010B44: D3F30008 1A024160
	buffer_load_dwordx4 a[232:235], v55, s[24:27], 0 offen     // 000000010B4C: E05C1000 8086E837
	v_mfma_f32_16x16x32_fp8_fp8 v[8:11], a[98:99], a[34:35], v[8:11]// 000000010B54: D3F30008 1C224562
	v_mfma_f32_16x16x32_fp8_fp8 v[8:11], a[100:101], a[36:37], v[8:11]// 000000010B5C: D3F30008 1C224964
	v_mfma_f32_16x16x32_fp8_fp8 v[8:11], a[102:103], a[38:39], v[8:11]// 000000010B64: D3F30008 1C224D66
	v_fma_f32 v120, v12, v4, v120                              // 000000010B6C: D1CB0078 05E2090C
	v_fma_f32 v121, v13, v4, v121                              // 000000010B74: D1CB0079 05E6090D
	v_fma_f32 v122, v14, v4, v122                              // 000000010B7C: D1CB007A 05EA090E
	v_fma_f32 v123, v15, v4, v123                              // 000000010B84: D1CB007B 05EE090F
	v_mfma_f32_16x16x32_fp8_fp8 v[12:15], a[104:105], a[32:33], 0// 000000010B8C: D3F3000C 1A024168
	buffer_load_dwordx4 a[236:239], v55, s[24:27], 0 offen offset:1024// 000000010B94: E05C1400 8086EC37
	buffer_load_dword v42, s[20:23], 0 offen lds               // 000000010B9C: E0511000 8005002A
	s_add_u32 m0, 0x100, s50                                   // 000000010BA4: 807C32FF 00000100
	v_mfma_f32_16x16x32_fp8_fp8 v[12:15], a[106:107], a[34:35], v[12:15]// 000000010BAC: D3F3000C 1C32456A
	v_mfma_f32_16x16x32_fp8_fp8 v[12:15], a[108:109], a[36:37], v[12:15]// 000000010BB4: D3F3000C 1C32496C
	buffer_load_dword v43, s[20:23], 0 offen lds               // 000000010BBC: E0511000 8005002B
	s_add_u32 m0, 0x200, s50                                   // 000000010BC4: 807C32FF 00000200
	v_mfma_f32_16x16x32_fp8_fp8 v[12:15], a[110:111], a[38:39], v[12:15]// 000000010BCC: D3F3000C 1C324D6E
	v_fma_f32 v132, v8, v6, v132                               // 000000010BD4: D1CB0084 06120D08
	v_fma_f32 v133, v9, v6, v133                               // 000000010BDC: D1CB0085 06160D09
	v_fma_f32 v134, v10, v6, v134                              // 000000010BE4: D1CB0086 061A0D0A
	v_fma_f32 v135, v11, v6, v135                              // 000000010BEC: D1CB0087 061E0D0B
	v_mul_f32_dpp v4, v24, v35 row_newbcast:0 row_mask:0xf bank_mask:0xf// 000000010BF4: 0A0846FA FF015018
	v_mfma_f32_16x16x32_fp8_fp8 v[8:11], a[48:49], a[40:41], 0 // 000000010BFC: D3F30008 1A025130
	buffer_load_dword v44, s[20:23], 0 offen lds               // 000000010C04: E0511000 8005002C
	s_add_u32 m0, 0x300, s50                                   // 000000010C0C: 807C32FF 00000300
	v_mfma_f32_16x16x32_fp8_fp8 v[8:11], a[50:51], a[42:43], v[8:11]// 000000010C14: D3F30008 1C225532
	v_mfma_f32_16x16x32_fp8_fp8 v[8:11], a[52:53], a[44:45], v[8:11]// 000000010C1C: D3F30008 1C225934
	buffer_load_dword v45, s[20:23], 0 offen lds               // 000000010C24: E0511000 8005002D
	s_add_u32 m0, 0x400, s50                                   // 000000010C2C: 807C32FF 00000400
	v_mfma_f32_16x16x32_fp8_fp8 v[8:11], a[54:55], a[46:47], v[8:11]// 000000010C34: D3F30008 1C225D36
	v_fma_f32 v144, v12, v6, v144                              // 000000010C3C: D1CB0090 06420D0C
	v_fma_f32 v145, v13, v6, v145                              // 000000010C44: D1CB0091 06460D0D
	v_fma_f32 v146, v14, v6, v146                              // 000000010C4C: D1CB0092 064A0D0E
	v_fma_f32 v147, v15, v6, v147                              // 000000010C54: D1CB0093 064E0D0F
	v_mfma_f32_16x16x32_fp8_fp8 v[12:15], a[56:57], a[40:41], 0// 000000010C5C: D3F3000C 1A025138
	buffer_load_dword v46, s[20:23], 0 offen lds               // 000000010C64: E0511000 8005002E
	s_add_u32 m0, 0x500, s50                                   // 000000010C6C: 807C32FF 00000500
	v_mfma_f32_16x16x32_fp8_fp8 v[12:15], a[58:59], a[42:43], v[12:15]// 000000010C74: D3F3000C 1C32553A
	v_mfma_f32_16x16x32_fp8_fp8 v[12:15], a[60:61], a[44:45], v[12:15]// 000000010C7C: D3F3000C 1C32593C
	buffer_load_dword v47, s[20:23], 0 offen lds               // 000000010C84: E0511000 8005002F
	s_add_u32 m0, 0, s48                                       // 000000010C8C: 807C3080
	v_mfma_f32_16x16x32_fp8_fp8 v[12:15], a[62:63], a[46:47], v[12:15]// 000000010C90: D3F3000C 1C325D3E
	v_fma_f32 v64, v8, v4, v64                                 // 000000010C98: D1CB0040 05020908
	v_fma_f32 v65, v9, v4, v65                                 // 000000010CA0: D1CB0041 05060909
	v_fma_f32 v66, v10, v4, v66                                // 000000010CA8: D1CB0042 050A090A
	v_fma_f32 v67, v11, v4, v67                                // 000000010CB0: D1CB0043 050E090B
	v_mul_f32_dpp v6, v24, v35 row_newbcast:1 row_mask:0xf bank_mask:0xf// 000000010CB8: 0A0C46FA FF015118
	v_mfma_f32_16x16x32_fp8_fp8 v[8:11], a[64:65], a[40:41], 0 // 000000010CC0: D3F30008 1A025140
	buffer_load_dword v39, v30, s[28:31], 0 offen              // 000000010CC8: E0501000 8007271E
	v_mfma_f32_16x16x32_fp8_fp8 v[8:11], a[66:67], a[42:43], v[8:11]// 000000010CD0: D3F30008 1C225542
	v_mfma_f32_16x16x32_fp8_fp8 v[8:11], a[68:69], a[44:45], v[8:11]// 000000010CD8: D3F30008 1C225944
	buffer_load_dword v40, v31, s[28:31], 0 offen              // 000000010CE0: E0501000 8007281F
	v_mfma_f32_16x16x32_fp8_fp8 v[8:11], a[70:71], a[46:47], v[8:11]// 000000010CE8: D3F30008 1C225D46
	v_fma_f32 v76, v12, v4, v76                                // 000000010CF0: D1CB004C 0532090C
	v_fma_f32 v77, v13, v4, v77                                // 000000010CF8: D1CB004D 0536090D
	v_fma_f32 v78, v14, v4, v78                                // 000000010D00: D1CB004E 053A090E
	v_fma_f32 v79, v15, v4, v79                                // 000000010D08: D1CB004F 053E090F
	v_mfma_f32_16x16x32_fp8_fp8 v[12:15], a[72:73], a[40:41], 0// 000000010D10: D3F3000C 1A025148
	buffer_load_dword v41, v32, s[28:31], 0 offen              // 000000010D18: E0501000 80072920
	v_mfma_f32_16x16x32_fp8_fp8 v[12:15], a[74:75], a[42:43], v[12:15]// 000000010D20: D3F3000C 1C32554A
	v_mfma_f32_16x16x32_fp8_fp8 v[12:15], a[76:77], a[44:45], v[12:15]// 000000010D28: D3F3000C 1C32594C
	v_mfma_f32_16x16x32_fp8_fp8 v[12:15], a[78:79], a[46:47], v[12:15]// 000000010D30: D3F3000C 1C325D4E
	v_fma_f32 v88, v8, v6, v88                                 // 000000010D38: D1CB0058 05620D08
	v_fma_f32 v89, v9, v6, v89                                 // 000000010D40: D1CB0059 05660D09
	v_fma_f32 v90, v10, v6, v90                                // 000000010D48: D1CB005A 056A0D0A
	v_fma_f32 v91, v11, v6, v91                                // 000000010D50: D1CB005B 056E0D0B
	v_mul_f32_dpp v4, v24, v35 row_newbcast:2 row_mask:0xf bank_mask:0xf// 000000010D58: 0A0846FA FF015218
	v_mfma_f32_16x16x32_fp8_fp8 v[8:11], a[80:81], a[40:41], 0 // 000000010D60: D3F30008 1A025150
	v_mfma_f32_16x16x32_fp8_fp8 v[8:11], a[82:83], a[42:43], v[8:11]// 000000010D68: D3F30008 1C225552
	v_mfma_f32_16x16x32_fp8_fp8 v[8:11], a[84:85], a[44:45], v[8:11]// 000000010D70: D3F30008 1C225954
	v_mfma_f32_16x16x32_fp8_fp8 v[8:11], a[86:87], a[46:47], v[8:11]// 000000010D78: D3F30008 1C225D56
	v_fma_f32 v100, v12, v6, v100                              // 000000010D80: D1CB0064 05920D0C
	v_fma_f32 v101, v13, v6, v101                              // 000000010D88: D1CB0065 05960D0D
	v_fma_f32 v102, v14, v6, v102                              // 000000010D90: D1CB0066 059A0D0E
	v_fma_f32 v103, v15, v6, v103                              // 000000010D98: D1CB0067 059E0D0F
	v_mfma_f32_16x16x32_fp8_fp8 v[12:15], a[88:89], a[40:41], 0// 000000010DA0: D3F3000C 1A025158
	v_mfma_f32_16x16x32_fp8_fp8 v[12:15], a[90:91], a[42:43], v[12:15]// 000000010DA8: D3F3000C 1C32555A
	v_mfma_f32_16x16x32_fp8_fp8 v[12:15], a[92:93], a[44:45], v[12:15]// 000000010DB0: D3F3000C 1C32595C
	v_mfma_f32_16x16x32_fp8_fp8 v[12:15], a[94:95], a[46:47], v[12:15]// 000000010DB8: D3F3000C 1C325D5E
	v_fma_f32 v112, v8, v4, v112                               // 000000010DC0: D1CB0070 05C20908
	v_fma_f32 v113, v9, v4, v113                               // 000000010DC8: D1CB0071 05C60909
	v_fma_f32 v114, v10, v4, v114                              // 000000010DD0: D1CB0072 05CA090A
	v_fma_f32 v115, v11, v4, v115                              // 000000010DD8: D1CB0073 05CE090B
	v_mul_f32_dpp v6, v24, v35 row_newbcast:3 row_mask:0xf bank_mask:0xf// 000000010DE0: 0A0C46FA FF015318
	v_mfma_f32_16x16x32_fp8_fp8 v[8:11], a[96:97], a[40:41], 0 // 000000010DE8: D3F30008 1A025160
	v_mfma_f32_16x16x32_fp8_fp8 v[8:11], a[98:99], a[42:43], v[8:11]// 000000010DF0: D3F30008 1C225562
	v_mfma_f32_16x16x32_fp8_fp8 v[8:11], a[100:101], a[44:45], v[8:11]// 000000010DF8: D3F30008 1C225964
	v_mfma_f32_16x16x32_fp8_fp8 v[8:11], a[102:103], a[46:47], v[8:11]// 000000010E00: D3F30008 1C225D66
	v_fma_f32 v124, v12, v4, v124                              // 000000010E08: D1CB007C 05F2090C
	v_fma_f32 v125, v13, v4, v125                              // 000000010E10: D1CB007D 05F6090D
	v_fma_f32 v126, v14, v4, v126                              // 000000010E18: D1CB007E 05FA090E
	v_fma_f32 v127, v15, v4, v127                              // 000000010E20: D1CB007F 05FE090F
	v_mfma_f32_16x16x32_fp8_fp8 v[12:15], a[104:105], a[40:41], 0// 000000010E28: D3F3000C 1A025168
	v_mfma_f32_16x16x32_fp8_fp8 v[12:15], a[106:107], a[42:43], v[12:15]// 000000010E30: D3F3000C 1C32556A
	v_mfma_f32_16x16x32_fp8_fp8 v[12:15], a[108:109], a[44:45], v[12:15]// 000000010E38: D3F3000C 1C32596C
	v_mfma_f32_16x16x32_fp8_fp8 v[12:15], a[110:111], a[46:47], v[12:15]// 000000010E40: D3F3000C 1C325D6E
	v_fma_f32 v136, v8, v6, v136                               // 000000010E48: D1CB0088 06220D08
	v_fma_f32 v137, v9, v6, v137                               // 000000010E50: D1CB0089 06260D09
	v_fma_f32 v138, v10, v6, v138                              // 000000010E58: D1CB008A 062A0D0A
	v_fma_f32 v139, v11, v6, v139                              // 000000010E60: D1CB008B 062E0D0B
	v_fma_f32 v148, v12, v6, v148                              // 000000010E68: D1CB0094 06520D0C
	v_fma_f32 v149, v13, v6, v149                              // 000000010E70: D1CB0095 06560D0D
	v_fma_f32 v150, v14, v6, v150                              // 000000010E78: D1CB0096 065A0D0E
	v_fma_f32 v151, v15, v6, v151                              // 000000010E80: D1CB0097 065E0D0F
	s_waitcnt vmcnt(26)                                        // 000000010E88: BF8C4F7A
	s_barrier                                                  // 000000010E8C: BF8A0000
	v_mul_f32_dpp v4, v27, v33 row_newbcast:0 row_mask:0xf bank_mask:0xf// 000000010E90: 0A0842FA FF01501B
	v_mfma_f32_16x16x32_fp8_fp8 v[8:11], a[112:113], a[24:25], 0// 000000010E98: D3F30008 1A023170
	buffer_load_dword v28, v23, s[32:35], 0 offen              // 000000010EA0: E0501000 80081C17
	buffer_load_dwordx4 a[48:51], v48, s[84:87], 0 offen       // 000000010EA8: E05C1000 80953030
	v_mfma_f32_16x16x32_fp8_fp8 v[8:11], a[114:115], a[26:27], v[8:11]// 000000010EB0: D3F30008 1C223572
	v_mfma_f32_16x16x32_fp8_fp8 v[8:11], a[116:117], a[28:29], v[8:11]// 000000010EB8: D3F30008 1C223974
	ds_read_b128 a[0:3], v2 offset:6272                        // 000000010EC0: DBFE1880 00000002
	ds_read_b128 a[4:7], v2 offset:6336                        // 000000010EC8: DBFE18C0 04000002
	v_mfma_f32_16x16x32_fp8_fp8 v[8:11], a[118:119], a[30:31], v[8:11]// 000000010ED0: D3F30008 1C223D76
	v_mfma_f32_16x16x32_fp8_fp8 v[12:15], a[120:121], a[24:25], 0// 000000010ED8: D3F3000C 1A023178
	buffer_load_dwordx4 a[52:55], v48, s[84:87], 0 offen offset:1024// 000000010EE0: E05C1400 80953430
	v_mfma_f32_16x16x32_fp8_fp8 v[12:15], a[122:123], a[26:27], v[12:15]// 000000010EE8: D3F3000C 1C32357A
	v_mfma_f32_16x16x32_fp8_fp8 v[12:15], a[124:125], a[28:29], v[12:15]// 000000010EF0: D3F3000C 1C32397C
	ds_read_b128 a[8:11], v2 offset:6784                       // 000000010EF8: DBFE1A80 08000002
	ds_read_b128 a[12:15], v2 offset:6848                      // 000000010F00: DBFE1AC0 0C000002
	v_mfma_f32_16x16x32_fp8_fp8 v[12:15], a[126:127], a[30:31], v[12:15]// 000000010F08: D3F3000C 1C323D7E
	v_fma_f32 v152, v8, v4, v152                               // 000000010F10: D1CB0098 06620908
	v_fma_f32 v153, v9, v4, v153                               // 000000010F18: D1CB0099 06660909
	v_fma_f32 v154, v10, v4, v154                              // 000000010F20: D1CB009A 066A090A
	v_fma_f32 v155, v11, v4, v155                              // 000000010F28: D1CB009B 066E090B
	v_mul_f32_dpp v6, v27, v33 row_newbcast:1 row_mask:0xf bank_mask:0xf// 000000010F30: 0A0C42FA FF01511B
	v_mfma_f32_16x16x32_fp8_fp8 v[8:11], a[128:129], a[24:25], 0// 000000010F38: D3F30008 1A023180
	buffer_load_dwordx4 a[56:59], v49, s[84:87], 0 offen       // 000000010F40: E05C1000 80953831
	v_mfma_f32_16x16x32_fp8_fp8 v[8:11], a[130:131], a[26:27], v[8:11]// 000000010F48: D3F30008 1C223582
	v_mfma_f32_16x16x32_fp8_fp8 v[8:11], a[132:133], a[28:29], v[8:11]// 000000010F50: D3F30008 1C223984
	ds_read_b128 a[16:19], v2 offset:7296                      // 000000010F58: DBFE1C80 10000002
	ds_read_b128 a[20:23], v2 offset:7360                      // 000000010F60: DBFE1CC0 14000002
	v_mfma_f32_16x16x32_fp8_fp8 v[8:11], a[134:135], a[30:31], v[8:11]// 000000010F68: D3F30008 1C223D86
	v_fma_f32 v164, v12, v4, v164                              // 000000010F70: D1CB00A4 0692090C
	v_fma_f32 v165, v13, v4, v165                              // 000000010F78: D1CB00A5 0696090D
	v_fma_f32 v166, v14, v4, v166                              // 000000010F80: D1CB00A6 069A090E
	v_fma_f32 v167, v15, v4, v167                              // 000000010F88: D1CB00A7 069E090F
	v_mfma_f32_16x16x32_fp8_fp8 v[12:15], a[136:137], a[24:25], 0// 000000010F90: D3F3000C 1A023188
	buffer_load_dwordx4 a[60:63], v49, s[84:87], 0 offen offset:1024// 000000010F98: E05C1400 80953C31
	v_mfma_f32_16x16x32_fp8_fp8 v[12:15], a[138:139], a[26:27], v[12:15]// 000000010FA0: D3F3000C 1C32358A
	v_mfma_f32_16x16x32_fp8_fp8 v[12:15], a[140:141], a[28:29], v[12:15]// 000000010FA8: D3F3000C 1C32398C
	v_mfma_f32_16x16x32_fp8_fp8 v[12:15], a[142:143], a[30:31], v[12:15]// 000000010FB0: D3F3000C 1C323D8E
	v_fma_f32 v176, v8, v6, v176                               // 000000010FB8: D1CB00B0 06C20D08
	v_fma_f32 v177, v9, v6, v177                               // 000000010FC0: D1CB00B1 06C60D09
	v_fma_f32 v178, v10, v6, v178                              // 000000010FC8: D1CB00B2 06CA0D0A
	v_fma_f32 v179, v11, v6, v179                              // 000000010FD0: D1CB00B3 06CE0D0B
	v_mul_f32_dpp v4, v27, v33 row_newbcast:2 row_mask:0xf bank_mask:0xf// 000000010FD8: 0A0842FA FF01521B
	v_mfma_f32_16x16x32_fp8_fp8 v[8:11], a[144:145], a[24:25], 0// 000000010FE0: D3F30008 1A023190
	buffer_load_dwordx4 a[64:67], v50, s[84:87], 0 offen       // 000000010FE8: E05C1000 80954032
	v_mfma_f32_16x16x32_fp8_fp8 v[8:11], a[146:147], a[26:27], v[8:11]// 000000010FF0: D3F30008 1C223592
	v_mfma_f32_16x16x32_fp8_fp8 v[8:11], a[148:149], a[28:29], v[8:11]// 000000010FF8: D3F30008 1C223994
	v_mfma_f32_16x16x32_fp8_fp8 v[8:11], a[150:151], a[30:31], v[8:11]// 000000011000: D3F30008 1C223D96
	v_fma_f32 v188, v12, v6, v188                              // 000000011008: D1CB00BC 06F20D0C
	v_fma_f32 v189, v13, v6, v189                              // 000000011010: D1CB00BD 06F60D0D
	v_fma_f32 v190, v14, v6, v190                              // 000000011018: D1CB00BE 06FA0D0E
	v_fma_f32 v191, v15, v6, v191                              // 000000011020: D1CB00BF 06FE0D0F
	v_mfma_f32_16x16x32_fp8_fp8 v[12:15], a[152:153], a[24:25], 0// 000000011028: D3F3000C 1A023198
	buffer_load_dwordx4 a[68:71], v50, s[84:87], 0 offen offset:1024// 000000011030: E05C1400 80954432
	v_mfma_f32_16x16x32_fp8_fp8 v[12:15], a[154:155], a[26:27], v[12:15]// 000000011038: D3F3000C 1C32359A
	v_mfma_f32_16x16x32_fp8_fp8 v[12:15], a[156:157], a[28:29], v[12:15]// 000000011040: D3F3000C 1C32399C
	v_mfma_f32_16x16x32_fp8_fp8 v[12:15], a[158:159], a[30:31], v[12:15]// 000000011048: D3F3000C 1C323D9E
	v_fma_f32 v200, v8, v4, v200                               // 000000011050: D1CB00C8 07220908
	v_fma_f32 v201, v9, v4, v201                               // 000000011058: D1CB00C9 07260909
	v_fma_f32 v202, v10, v4, v202                              // 000000011060: D1CB00CA 072A090A
	v_fma_f32 v203, v11, v4, v203                              // 000000011068: D1CB00CB 072E090B
	v_mul_f32_dpp v6, v27, v33 row_newbcast:3 row_mask:0xf bank_mask:0xf// 000000011070: 0A0C42FA FF01531B
	v_mfma_f32_16x16x32_fp8_fp8 v[8:11], a[160:161], a[24:25], 0// 000000011078: D3F30008 1A0231A0
	buffer_load_dwordx4 a[72:75], v51, s[84:87], 0 offen       // 000000011080: E05C1000 80954833
	v_mfma_f32_16x16x32_fp8_fp8 v[8:11], a[162:163], a[26:27], v[8:11]// 000000011088: D3F30008 1C2235A2
	v_mfma_f32_16x16x32_fp8_fp8 v[8:11], a[164:165], a[28:29], v[8:11]// 000000011090: D3F30008 1C2239A4
	v_mfma_f32_16x16x32_fp8_fp8 v[8:11], a[166:167], a[30:31], v[8:11]// 000000011098: D3F30008 1C223DA6
	v_fma_f32 v212, v12, v4, v212                              // 0000000110A0: D1CB00D4 0752090C
	v_fma_f32 v213, v13, v4, v213                              // 0000000110A8: D1CB00D5 0756090D
	v_fma_f32 v214, v14, v4, v214                              // 0000000110B0: D1CB00D6 075A090E
	v_fma_f32 v215, v15, v4, v215                              // 0000000110B8: D1CB00D7 075E090F
	v_mfma_f32_16x16x32_fp8_fp8 v[12:15], a[168:169], a[24:25], 0// 0000000110C0: D3F3000C 1A0231A8
	buffer_load_dwordx4 a[76:79], v51, s[84:87], 0 offen offset:1024// 0000000110C8: E05C1400 80954C33
	v_mfma_f32_16x16x32_fp8_fp8 v[12:15], a[170:171], a[26:27], v[12:15]// 0000000110D0: D3F3000C 1C3235AA
	v_mfma_f32_16x16x32_fp8_fp8 v[12:15], a[172:173], a[28:29], v[12:15]// 0000000110D8: D3F3000C 1C3239AC
	v_mfma_f32_16x16x32_fp8_fp8 v[12:15], a[174:175], a[30:31], v[12:15]// 0000000110E0: D3F3000C 1C323DAE
	v_fma_f32 v224, v8, v6, v224                               // 0000000110E8: D1CB00E0 07820D08
	v_fma_f32 v225, v9, v6, v225                               // 0000000110F0: D1CB00E1 07860D09
	v_fma_f32 v226, v10, v6, v226                              // 0000000110F8: D1CB00E2 078A0D0A
	v_fma_f32 v227, v11, v6, v227                              // 000000011100: D1CB00E3 078E0D0B
	v_mul_f32_dpp v4, v27, v34 row_newbcast:0 row_mask:0xf bank_mask:0xf// 000000011108: 0A0844FA FF01501B
	v_mfma_f32_16x16x32_fp8_fp8 v[8:11], a[112:113], a[32:33], 0// 000000011110: D3F30008 1A024170
	buffer_load_dwordx4 a[80:83], v52, s[84:87], 0 offen       // 000000011118: E05C1000 80955034
	v_mfma_f32_16x16x32_fp8_fp8 v[8:11], a[114:115], a[34:35], v[8:11]// 000000011120: D3F30008 1C224572
	v_mfma_f32_16x16x32_fp8_fp8 v[8:11], a[116:117], a[36:37], v[8:11]// 000000011128: D3F30008 1C224974
	v_mfma_f32_16x16x32_fp8_fp8 v[8:11], a[118:119], a[38:39], v[8:11]// 000000011130: D3F30008 1C224D76
	v_fma_f32 v236, v12, v6, v236                              // 000000011138: D1CB00EC 07B20D0C
	v_fma_f32 v237, v13, v6, v237                              // 000000011140: D1CB00ED 07B60D0D
	v_fma_f32 v238, v14, v6, v238                              // 000000011148: D1CB00EE 07BA0D0E
	v_fma_f32 v239, v15, v6, v239                              // 000000011150: D1CB00EF 07BE0D0F
	v_mfma_f32_16x16x32_fp8_fp8 v[12:15], a[120:121], a[32:33], 0// 000000011158: D3F3000C 1A024178
	buffer_load_dwordx4 a[84:87], v52, s[84:87], 0 offen offset:1024// 000000011160: E05C1400 80955434
	v_mfma_f32_16x16x32_fp8_fp8 v[12:15], a[122:123], a[34:35], v[12:15]// 000000011168: D3F3000C 1C32457A
	v_mfma_f32_16x16x32_fp8_fp8 v[12:15], a[124:125], a[36:37], v[12:15]// 000000011170: D3F3000C 1C32497C
	v_mfma_f32_16x16x32_fp8_fp8 v[12:15], a[126:127], a[38:39], v[12:15]// 000000011178: D3F3000C 1C324D7E
	v_fma_f32 v156, v8, v4, v156                               // 000000011180: D1CB009C 06720908
	v_fma_f32 v157, v9, v4, v157                               // 000000011188: D1CB009D 06760909
	v_fma_f32 v158, v10, v4, v158                              // 000000011190: D1CB009E 067A090A
	v_fma_f32 v159, v11, v4, v159                              // 000000011198: D1CB009F 067E090B
	v_mul_f32_dpp v6, v27, v34 row_newbcast:1 row_mask:0xf bank_mask:0xf// 0000000111A0: 0A0C44FA FF01511B
	v_mfma_f32_16x16x32_fp8_fp8 v[8:11], a[128:129], a[32:33], 0// 0000000111A8: D3F30008 1A024180
	buffer_load_dwordx4 a[88:91], v53, s[84:87], 0 offen       // 0000000111B0: E05C1000 80955835
	v_mfma_f32_16x16x32_fp8_fp8 v[8:11], a[130:131], a[34:35], v[8:11]// 0000000111B8: D3F30008 1C224582
	v_mfma_f32_16x16x32_fp8_fp8 v[8:11], a[132:133], a[36:37], v[8:11]// 0000000111C0: D3F30008 1C224984
	v_mfma_f32_16x16x32_fp8_fp8 v[8:11], a[134:135], a[38:39], v[8:11]// 0000000111C8: D3F30008 1C224D86
	v_fma_f32 v168, v12, v4, v168                              // 0000000111D0: D1CB00A8 06A2090C
	v_fma_f32 v169, v13, v4, v169                              // 0000000111D8: D1CB00A9 06A6090D
	v_fma_f32 v170, v14, v4, v170                              // 0000000111E0: D1CB00AA 06AA090E
	v_fma_f32 v171, v15, v4, v171                              // 0000000111E8: D1CB00AB 06AE090F
	v_mfma_f32_16x16x32_fp8_fp8 v[12:15], a[136:137], a[32:33], 0// 0000000111F0: D3F3000C 1A024188
	buffer_load_dwordx4 a[92:95], v53, s[84:87], 0 offen offset:1024// 0000000111F8: E05C1400 80955C35
	v_mfma_f32_16x16x32_fp8_fp8 v[12:15], a[138:139], a[34:35], v[12:15]// 000000011200: D3F3000C 1C32458A
	v_mfma_f32_16x16x32_fp8_fp8 v[12:15], a[140:141], a[36:37], v[12:15]// 000000011208: D3F3000C 1C32498C
	v_mfma_f32_16x16x32_fp8_fp8 v[12:15], a[142:143], a[38:39], v[12:15]// 000000011210: D3F3000C 1C324D8E
	v_fma_f32 v180, v8, v6, v180                               // 000000011218: D1CB00B4 06D20D08
	v_fma_f32 v181, v9, v6, v181                               // 000000011220: D1CB00B5 06D60D09
	v_fma_f32 v182, v10, v6, v182                              // 000000011228: D1CB00B6 06DA0D0A
	v_fma_f32 v183, v11, v6, v183                              // 000000011230: D1CB00B7 06DE0D0B
	v_mul_f32_dpp v4, v27, v34 row_newbcast:2 row_mask:0xf bank_mask:0xf// 000000011238: 0A0844FA FF01521B
	v_mfma_f32_16x16x32_fp8_fp8 v[8:11], a[144:145], a[32:33], 0// 000000011240: D3F30008 1A024190
	buffer_load_dwordx4 a[96:99], v54, s[84:87], 0 offen       // 000000011248: E05C1000 80956036
	v_mfma_f32_16x16x32_fp8_fp8 v[8:11], a[146:147], a[34:35], v[8:11]// 000000011250: D3F30008 1C224592
	v_mfma_f32_16x16x32_fp8_fp8 v[8:11], a[148:149], a[36:37], v[8:11]// 000000011258: D3F30008 1C224994
	v_mfma_f32_16x16x32_fp8_fp8 v[8:11], a[150:151], a[38:39], v[8:11]// 000000011260: D3F30008 1C224D96
	v_fma_f32 v192, v12, v6, v192                              // 000000011268: D1CB00C0 07020D0C
	v_fma_f32 v193, v13, v6, v193                              // 000000011270: D1CB00C1 07060D0D
	v_fma_f32 v194, v14, v6, v194                              // 000000011278: D1CB00C2 070A0D0E
	v_fma_f32 v195, v15, v6, v195                              // 000000011280: D1CB00C3 070E0D0F
	v_mfma_f32_16x16x32_fp8_fp8 v[12:15], a[152:153], a[32:33], 0// 000000011288: D3F3000C 1A024198
	buffer_load_dwordx4 a[100:103], v54, s[84:87], 0 offen offset:1024// 000000011290: E05C1400 80956436
	v_mfma_f32_16x16x32_fp8_fp8 v[12:15], a[154:155], a[34:35], v[12:15]// 000000011298: D3F3000C 1C32459A
	v_mfma_f32_16x16x32_fp8_fp8 v[12:15], a[156:157], a[36:37], v[12:15]// 0000000112A0: D3F3000C 1C32499C
	v_mfma_f32_16x16x32_fp8_fp8 v[12:15], a[158:159], a[38:39], v[12:15]// 0000000112A8: D3F3000C 1C324D9E
	v_fma_f32 v204, v8, v4, v204                               // 0000000112B0: D1CB00CC 07320908
	v_fma_f32 v205, v9, v4, v205                               // 0000000112B8: D1CB00CD 07360909
	v_fma_f32 v206, v10, v4, v206                              // 0000000112C0: D1CB00CE 073A090A
	v_fma_f32 v207, v11, v4, v207                              // 0000000112C8: D1CB00CF 073E090B
	v_mul_f32_dpp v6, v27, v34 row_newbcast:3 row_mask:0xf bank_mask:0xf// 0000000112D0: 0A0C44FA FF01531B
	v_mfma_f32_16x16x32_fp8_fp8 v[8:11], a[160:161], a[32:33], 0// 0000000112D8: D3F30008 1A0241A0
	buffer_load_dwordx4 a[104:107], v55, s[84:87], 0 offen     // 0000000112E0: E05C1000 80956837
	v_mfma_f32_16x16x32_fp8_fp8 v[8:11], a[162:163], a[34:35], v[8:11]// 0000000112E8: D3F30008 1C2245A2
	v_mfma_f32_16x16x32_fp8_fp8 v[8:11], a[164:165], a[36:37], v[8:11]// 0000000112F0: D3F30008 1C2249A4
	v_mfma_f32_16x16x32_fp8_fp8 v[8:11], a[166:167], a[38:39], v[8:11]// 0000000112F8: D3F30008 1C224DA6
	v_fma_f32 v216, v12, v4, v216                              // 000000011300: D1CB00D8 0762090C
	v_fma_f32 v217, v13, v4, v217                              // 000000011308: D1CB00D9 0766090D
	v_fma_f32 v218, v14, v4, v218                              // 000000011310: D1CB00DA 076A090E
	v_fma_f32 v219, v15, v4, v219                              // 000000011318: D1CB00DB 076E090F
	v_mfma_f32_16x16x32_fp8_fp8 v[12:15], a[168:169], a[32:33], 0// 000000011320: D3F3000C 1A0241A8
	buffer_load_dwordx4 a[108:111], v55, s[84:87], 0 offen offset:1024// 000000011328: E05C1400 80956C37
	v_mfma_f32_16x16x32_fp8_fp8 v[12:15], a[170:171], a[34:35], v[12:15]// 000000011330: D3F3000C 1C3245AA
	v_mfma_f32_16x16x32_fp8_fp8 v[12:15], a[172:173], a[36:37], v[12:15]// 000000011338: D3F3000C 1C3249AC
	v_mfma_f32_16x16x32_fp8_fp8 v[12:15], a[174:175], a[38:39], v[12:15]// 000000011340: D3F3000C 1C324DAE
	v_fma_f32 v228, v8, v6, v228                               // 000000011348: D1CB00E4 07920D08
	v_fma_f32 v229, v9, v6, v229                               // 000000011350: D1CB00E5 07960D09
	v_fma_f32 v230, v10, v6, v230                              // 000000011358: D1CB00E6 079A0D0A
	v_fma_f32 v231, v11, v6, v231                              // 000000011360: D1CB00E7 079E0D0B
	v_mul_f32_dpp v4, v27, v35 row_newbcast:0 row_mask:0xf bank_mask:0xf// 000000011368: 0A0846FA FF01501B
	v_mfma_f32_16x16x32_fp8_fp8 v[8:11], a[112:113], a[40:41], 0// 000000011370: D3F30008 1A025170
	v_mfma_f32_16x16x32_fp8_fp8 v[8:11], a[114:115], a[42:43], v[8:11]// 000000011378: D3F30008 1C225572
	v_mfma_f32_16x16x32_fp8_fp8 v[8:11], a[116:117], a[44:45], v[8:11]// 000000011380: D3F30008 1C225974
	v_mfma_f32_16x16x32_fp8_fp8 v[8:11], a[118:119], a[46:47], v[8:11]// 000000011388: D3F30008 1C225D76
	v_fma_f32 v240, v12, v6, v240                              // 000000011390: D1CB00F0 07C20D0C
	v_fma_f32 v241, v13, v6, v241                              // 000000011398: D1CB00F1 07C60D0D
	v_fma_f32 v242, v14, v6, v242                              // 0000000113A0: D1CB00F2 07CA0D0E
	v_fma_f32 v243, v15, v6, v243                              // 0000000113A8: D1CB00F3 07CE0D0F
	v_mfma_f32_16x16x32_fp8_fp8 v[12:15], a[120:121], a[40:41], 0// 0000000113B0: D3F3000C 1A025178
	v_mfma_f32_16x16x32_fp8_fp8 v[12:15], a[122:123], a[42:43], v[12:15]// 0000000113B8: D3F3000C 1C32557A
	v_mfma_f32_16x16x32_fp8_fp8 v[12:15], a[124:125], a[44:45], v[12:15]// 0000000113C0: D3F3000C 1C32597C
	v_mfma_f32_16x16x32_fp8_fp8 v[12:15], a[126:127], a[46:47], v[12:15]// 0000000113C8: D3F3000C 1C325D7E
	v_fma_f32 v160, v8, v4, v160                               // 0000000113D0: D1CB00A0 06820908
	v_fma_f32 v161, v9, v4, v161                               // 0000000113D8: D1CB00A1 06860909
	v_fma_f32 v162, v10, v4, v162                              // 0000000113E0: D1CB00A2 068A090A
	v_fma_f32 v163, v11, v4, v163                              // 0000000113E8: D1CB00A3 068E090B
	v_mul_f32_dpp v6, v27, v35 row_newbcast:1 row_mask:0xf bank_mask:0xf// 0000000113F0: 0A0C46FA FF01511B
	v_mfma_f32_16x16x32_fp8_fp8 v[8:11], a[128:129], a[40:41], 0// 0000000113F8: D3F30008 1A025180
	v_mfma_f32_16x16x32_fp8_fp8 v[8:11], a[130:131], a[42:43], v[8:11]// 000000011400: D3F30008 1C225582
	v_mfma_f32_16x16x32_fp8_fp8 v[8:11], a[132:133], a[44:45], v[8:11]// 000000011408: D3F30008 1C225984
	v_mfma_f32_16x16x32_fp8_fp8 v[8:11], a[134:135], a[46:47], v[8:11]// 000000011410: D3F30008 1C225D86
	v_fma_f32 v172, v12, v4, v172                              // 000000011418: D1CB00AC 06B2090C
	v_fma_f32 v173, v13, v4, v173                              // 000000011420: D1CB00AD 06B6090D
	v_fma_f32 v174, v14, v4, v174                              // 000000011428: D1CB00AE 06BA090E
	v_fma_f32 v175, v15, v4, v175                              // 000000011430: D1CB00AF 06BE090F
	v_mfma_f32_16x16x32_fp8_fp8 v[12:15], a[136:137], a[40:41], 0// 000000011438: D3F3000C 1A025188
	v_mfma_f32_16x16x32_fp8_fp8 v[12:15], a[138:139], a[42:43], v[12:15]// 000000011440: D3F3000C 1C32558A
	v_mfma_f32_16x16x32_fp8_fp8 v[12:15], a[140:141], a[44:45], v[12:15]// 000000011448: D3F3000C 1C32598C
	v_mfma_f32_16x16x32_fp8_fp8 v[12:15], a[142:143], a[46:47], v[12:15]// 000000011450: D3F3000C 1C325D8E
	v_fma_f32 v184, v8, v6, v184                               // 000000011458: D1CB00B8 06E20D08
	v_fma_f32 v185, v9, v6, v185                               // 000000011460: D1CB00B9 06E60D09
	v_fma_f32 v186, v10, v6, v186                              // 000000011468: D1CB00BA 06EA0D0A
	v_fma_f32 v187, v11, v6, v187                              // 000000011470: D1CB00BB 06EE0D0B
	v_mul_f32_dpp v4, v27, v35 row_newbcast:2 row_mask:0xf bank_mask:0xf// 000000011478: 0A0846FA FF01521B
	v_mfma_f32_16x16x32_fp8_fp8 v[8:11], a[144:145], a[40:41], 0// 000000011480: D3F30008 1A025190
	v_mfma_f32_16x16x32_fp8_fp8 v[8:11], a[146:147], a[42:43], v[8:11]// 000000011488: D3F30008 1C225592
	v_mfma_f32_16x16x32_fp8_fp8 v[8:11], a[148:149], a[44:45], v[8:11]// 000000011490: D3F30008 1C225994
	v_mfma_f32_16x16x32_fp8_fp8 v[8:11], a[150:151], a[46:47], v[8:11]// 000000011498: D3F30008 1C225D96
	v_fma_f32 v196, v12, v6, v196                              // 0000000114A0: D1CB00C4 07120D0C
	v_fma_f32 v197, v13, v6, v197                              // 0000000114A8: D1CB00C5 07160D0D
	v_fma_f32 v198, v14, v6, v198                              // 0000000114B0: D1CB00C6 071A0D0E
	v_fma_f32 v199, v15, v6, v199                              // 0000000114B8: D1CB00C7 071E0D0F
	v_mfma_f32_16x16x32_fp8_fp8 v[12:15], a[152:153], a[40:41], 0// 0000000114C0: D3F3000C 1A025198
	v_mfma_f32_16x16x32_fp8_fp8 v[12:15], a[154:155], a[42:43], v[12:15]// 0000000114C8: D3F3000C 1C32559A
	v_mfma_f32_16x16x32_fp8_fp8 v[12:15], a[156:157], a[44:45], v[12:15]// 0000000114D0: D3F3000C 1C32599C
	v_mfma_f32_16x16x32_fp8_fp8 v[12:15], a[158:159], a[46:47], v[12:15]// 0000000114D8: D3F3000C 1C325D9E
	v_fma_f32 v208, v8, v4, v208                               // 0000000114E0: D1CB00D0 07420908
	v_fma_f32 v209, v9, v4, v209                               // 0000000114E8: D1CB00D1 07460909
	v_fma_f32 v210, v10, v4, v210                              // 0000000114F0: D1CB00D2 074A090A
	v_fma_f32 v211, v11, v4, v211                              // 0000000114F8: D1CB00D3 074E090B
	v_mul_f32_dpp v6, v27, v35 row_newbcast:3 row_mask:0xf bank_mask:0xf// 000000011500: 0A0C46FA FF01531B
	v_mfma_f32_16x16x32_fp8_fp8 v[8:11], a[160:161], a[40:41], 0// 000000011508: D3F30008 1A0251A0
	s_add_u32 s60, 0x180, s80                                  // 000000011510: 803C50FF 00000180
	s_cmp_lt_u32 s60, s81                                      // 000000011518: BF0A513C
	s_cselect_b32 s57, s57, 0                                  // 00000001151C: 85398039
	s_cselect_b32 s3, s3, 0                                    // 000000011520: 85038003
	v_mfma_f32_16x16x32_fp8_fp8 v[8:11], a[162:163], a[42:43], v[8:11]// 000000011524: D3F30008 1C2255A2
	s_add_u32 s60, 0x100, s80                                  // 00000001152C: 803C50FF 00000100
	s_cmp_lt_u32 s60, s81                                      // 000000011534: BF0A513C
	s_cselect_b32 s58, s58, 0                                  // 000000011538: 853A803A
	v_mfma_f32_16x16x32_fp8_fp8 v[8:11], a[164:165], a[44:45], v[8:11]// 00000001153C: D3F30008 1C2259A4
	s_add_u32 s60, 0x100, s80                                  // 000000011544: 803C50FF 00000100
	s_cmp_lt_u32 s60, s81                                      // 00000001154C: BF0A513C
	s_cselect_b32 s83, s83, 0                                  // 000000011550: 85538053
	s_cselect_b32 s4, s4, 0                                    // 000000011554: 85048004
	v_mfma_f32_16x16x32_fp8_fp8 v[8:11], a[166:167], a[46:47], v[8:11]// 000000011558: D3F30008 1C225DA6
	s_add_u32 s24, s58, s24                                    // 000000011560: 8018183A
	s_addc_u32 s25, 0, s25                                     // 000000011564: 82191980
	v_fma_f32 v220, v12, v4, v220                              // 000000011568: D1CB00DC 0772090C
	v_fma_f32 v221, v13, v4, v221                              // 000000011570: D1CB00DD 0776090D
	v_fma_f32 v222, v14, v4, v222                              // 000000011578: D1CB00DE 077A090E
	v_fma_f32 v223, v15, v4, v223                              // 000000011580: D1CB00DF 077E090F
	v_mfma_f32_16x16x32_fp8_fp8 v[12:15], a[168:169], a[40:41], 0// 000000011588: D3F3000C 1A0251A8
	s_add_u32 s20, s57, s20                                    // 000000011590: 80141439
	s_addc_u32 s21, 0, s21                                     // 000000011594: 82151580
	s_add_u32 s28, s3, s28                                     // 000000011598: 801C1C03
	s_addc_u32 s29, 0, s29                                     // 00000001159C: 821D1D80
	v_mfma_f32_16x16x32_fp8_fp8 v[12:15], a[170:171], a[42:43], v[12:15]// 0000000115A0: D3F3000C 1C3255AA
	s_add_u32 s84, s83, s84                                    // 0000000115A8: 80545453
	s_addc_u32 s85, 0, s85                                     // 0000000115AC: 82555580
	v_mfma_f32_16x16x32_fp8_fp8 v[12:15], a[172:173], a[44:45], v[12:15]// 0000000115B0: D3F3000C 1C3259AC
	s_add_u32 s32, s4, s32                                     // 0000000115B8: 80202004
	s_addc_u32 s33, 0, s33                                     // 0000000115BC: 82212180
	v_mfma_f32_16x16x32_fp8_fp8 v[12:15], a[174:175], a[46:47], v[12:15]// 0000000115C0: D3F3000C 1C325DAE
	v_fma_f32 v232, v8, v6, v232                               // 0000000115C8: D1CB00E8 07A20D08
	v_fma_f32 v233, v9, v6, v233                               // 0000000115D0: D1CB00E9 07A60D09
	v_fma_f32 v234, v10, v6, v234                              // 0000000115D8: D1CB00EA 07AA0D0A
	v_fma_f32 v235, v11, v6, v235                              // 0000000115E0: D1CB00EB 07AE0D0B
	v_fma_f32 v244, v12, v6, v244                              // 0000000115E8: D1CB00F4 07D20D0C
	v_fma_f32 v245, v13, v6, v245                              // 0000000115F0: D1CB00F5 07D60D0D
	v_fma_f32 v246, v14, v6, v246                              // 0000000115F8: D1CB00F6 07DA0D0E
	v_fma_f32 v247, v15, v6, v247                              // 000000011600: D1CB00F7 07DE0D0F
	s_addk_i32 s80, 0x80                                       // 000000011608: B7500080
	s_cmp_lt_i32 s80, s81                                      // 00000001160C: BF045150
	s_cbranch_scc0 label_427F                                  // 000000011610: BF840777
	s_waitcnt vmcnt(26) lgkmcnt(0)                             // 000000011614: BF8C407A
	v_mul_f32_dpp v4, v25, v36 row_newbcast:0 row_mask:0xf bank_mask:0xf// 000000011618: 0A0848FA FF015019
	v_mfma_f32_16x16x32_fp8_fp8 v[8:11], a[176:177], a[0:1], 0 // 000000011620: D3F30008 1A0201B0
	buffer_load_dword v26, v22, s[32:35], 0 offen              // 000000011628: E0501000 80081A16
	buffer_load_dwordx4 a[112:115], v48, s[24:27], 0 offen     // 000000011630: E05C1000 80867030
	v_mfma_f32_16x16x32_fp8_fp8 v[8:11], a[178:179], a[2:3], v[8:11]// 000000011638: D3F30008 1C2205B2
	v_mfma_f32_16x16x32_fp8_fp8 v[8:11], a[180:181], a[4:5], v[8:11]// 000000011640: D3F30008 1C2209B4
	v_mfma_f32_16x16x32_fp8_fp8 v[8:11], a[182:183], a[6:7], v[8:11]// 000000011648: D3F30008 1C220DB6
	v_mfma_f32_16x16x32_fp8_fp8 v[12:15], a[184:185], a[0:1], 0// 000000011650: D3F3000C 1A0201B8
	buffer_load_dwordx4 a[116:119], v48, s[24:27], 0 offen offset:1024// 000000011658: E05C1400 80867430
	v_mfma_f32_16x16x32_fp8_fp8 v[12:15], a[186:187], a[2:3], v[12:15]// 000000011660: D3F3000C 1C3205BA
	v_mfma_f32_16x16x32_fp8_fp8 v[12:15], a[188:189], a[4:5], v[12:15]// 000000011668: D3F3000C 1C3209BC
	v_mfma_f32_16x16x32_fp8_fp8 v[12:15], a[190:191], a[6:7], v[12:15]// 000000011670: D3F3000C 1C320DBE
	v_fma_f32 v56, v8, v4, v56                                 // 000000011678: D1CB0038 04E20908
	v_fma_f32 v57, v9, v4, v57                                 // 000000011680: D1CB0039 04E60909
	v_fma_f32 v58, v10, v4, v58                                // 000000011688: D1CB003A 04EA090A
	v_fma_f32 v59, v11, v4, v59                                // 000000011690: D1CB003B 04EE090B
	v_mul_f32_dpp v6, v25, v36 row_newbcast:1 row_mask:0xf bank_mask:0xf// 000000011698: 0A0C48FA FF015119
	v_mfma_f32_16x16x32_fp8_fp8 v[8:11], a[192:193], a[0:1], 0 // 0000000116A0: D3F30008 1A0201C0
	buffer_load_dwordx4 a[120:123], v49, s[24:27], 0 offen     // 0000000116A8: E05C1000 80867831
	v_mfma_f32_16x16x32_fp8_fp8 v[8:11], a[194:195], a[2:3], v[8:11]// 0000000116B0: D3F30008 1C2205C2
	v_mfma_f32_16x16x32_fp8_fp8 v[8:11], a[196:197], a[4:5], v[8:11]// 0000000116B8: D3F30008 1C2209C4
	v_mfma_f32_16x16x32_fp8_fp8 v[8:11], a[198:199], a[6:7], v[8:11]// 0000000116C0: D3F30008 1C220DC6
	v_fma_f32 v68, v12, v4, v68                                // 0000000116C8: D1CB0044 0512090C
	v_fma_f32 v69, v13, v4, v69                                // 0000000116D0: D1CB0045 0516090D
	v_fma_f32 v70, v14, v4, v70                                // 0000000116D8: D1CB0046 051A090E
	v_fma_f32 v71, v15, v4, v71                                // 0000000116E0: D1CB0047 051E090F
	v_mfma_f32_16x16x32_fp8_fp8 v[12:15], a[200:201], a[0:1], 0// 0000000116E8: D3F3000C 1A0201C8
	buffer_load_dwordx4 a[124:127], v49, s[24:27], 0 offen offset:1024// 0000000116F0: E05C1400 80867C31
	v_mfma_f32_16x16x32_fp8_fp8 v[12:15], a[202:203], a[2:3], v[12:15]// 0000000116F8: D3F3000C 1C3205CA
	v_mfma_f32_16x16x32_fp8_fp8 v[12:15], a[204:205], a[4:5], v[12:15]// 000000011700: D3F3000C 1C3209CC
	v_mfma_f32_16x16x32_fp8_fp8 v[12:15], a[206:207], a[6:7], v[12:15]// 000000011708: D3F3000C 1C320DCE
	v_fma_f32 v80, v8, v6, v80                                 // 000000011710: D1CB0050 05420D08
	v_fma_f32 v81, v9, v6, v81                                 // 000000011718: D1CB0051 05460D09
	v_fma_f32 v82, v10, v6, v82                                // 000000011720: D1CB0052 054A0D0A
	v_fma_f32 v83, v11, v6, v83                                // 000000011728: D1CB0053 054E0D0B
	v_mul_f32_dpp v4, v25, v36 row_newbcast:2 row_mask:0xf bank_mask:0xf// 000000011730: 0A0848FA FF015219
	v_mfma_f32_16x16x32_fp8_fp8 v[8:11], a[208:209], a[0:1], 0 // 000000011738: D3F30008 1A0201D0
	buffer_load_dwordx4 a[128:131], v50, s[24:27], 0 offen     // 000000011740: E05C1000 80868032
	v_mfma_f32_16x16x32_fp8_fp8 v[8:11], a[210:211], a[2:3], v[8:11]// 000000011748: D3F30008 1C2205D2
	v_mfma_f32_16x16x32_fp8_fp8 v[8:11], a[212:213], a[4:5], v[8:11]// 000000011750: D3F30008 1C2209D4
	v_mfma_f32_16x16x32_fp8_fp8 v[8:11], a[214:215], a[6:7], v[8:11]// 000000011758: D3F30008 1C220DD6
	v_fma_f32 v92, v12, v6, v92                                // 000000011760: D1CB005C 05720D0C
	v_fma_f32 v93, v13, v6, v93                                // 000000011768: D1CB005D 05760D0D
	v_fma_f32 v94, v14, v6, v94                                // 000000011770: D1CB005E 057A0D0E
	v_fma_f32 v95, v15, v6, v95                                // 000000011778: D1CB005F 057E0D0F
	v_mfma_f32_16x16x32_fp8_fp8 v[12:15], a[216:217], a[0:1], 0// 000000011780: D3F3000C 1A0201D8
	buffer_load_dwordx4 a[132:135], v50, s[24:27], 0 offen offset:1024// 000000011788: E05C1400 80868432
	v_mfma_f32_16x16x32_fp8_fp8 v[12:15], a[218:219], a[2:3], v[12:15]// 000000011790: D3F3000C 1C3205DA
	v_mfma_f32_16x16x32_fp8_fp8 v[12:15], a[220:221], a[4:5], v[12:15]// 000000011798: D3F3000C 1C3209DC
	v_mfma_f32_16x16x32_fp8_fp8 v[12:15], a[222:223], a[6:7], v[12:15]// 0000000117A0: D3F3000C 1C320DDE
	v_fma_f32 v104, v8, v4, v104                               // 0000000117A8: D1CB0068 05A20908
	v_fma_f32 v105, v9, v4, v105                               // 0000000117B0: D1CB0069 05A60909
	v_fma_f32 v106, v10, v4, v106                              // 0000000117B8: D1CB006A 05AA090A
	v_fma_f32 v107, v11, v4, v107                              // 0000000117C0: D1CB006B 05AE090B
	v_mul_f32_dpp v6, v25, v36 row_newbcast:3 row_mask:0xf bank_mask:0xf// 0000000117C8: 0A0C48FA FF015319
	v_mfma_f32_16x16x32_fp8_fp8 v[8:11], a[224:225], a[0:1], 0 // 0000000117D0: D3F30008 1A0201E0
	buffer_load_dwordx4 a[136:139], v51, s[24:27], 0 offen     // 0000000117D8: E05C1000 80868833
	v_mfma_f32_16x16x32_fp8_fp8 v[8:11], a[226:227], a[2:3], v[8:11]// 0000000117E0: D3F30008 1C2205E2
	v_mfma_f32_16x16x32_fp8_fp8 v[8:11], a[228:229], a[4:5], v[8:11]// 0000000117E8: D3F30008 1C2209E4
	v_mfma_f32_16x16x32_fp8_fp8 v[8:11], a[230:231], a[6:7], v[8:11]// 0000000117F0: D3F30008 1C220DE6
	v_fma_f32 v116, v12, v4, v116                              // 0000000117F8: D1CB0074 05D2090C
	v_fma_f32 v117, v13, v4, v117                              // 000000011800: D1CB0075 05D6090D
	v_fma_f32 v118, v14, v4, v118                              // 000000011808: D1CB0076 05DA090E
	v_fma_f32 v119, v15, v4, v119                              // 000000011810: D1CB0077 05DE090F
	v_mfma_f32_16x16x32_fp8_fp8 v[12:15], a[232:233], a[0:1], 0// 000000011818: D3F3000C 1A0201E8
	buffer_load_dwordx4 a[140:143], v51, s[24:27], 0 offen offset:1024// 000000011820: E05C1400 80868C33
	v_mfma_f32_16x16x32_fp8_fp8 v[12:15], a[234:235], a[2:3], v[12:15]// 000000011828: D3F3000C 1C3205EA
	v_mfma_f32_16x16x32_fp8_fp8 v[12:15], a[236:237], a[4:5], v[12:15]// 000000011830: D3F3000C 1C3209EC
	v_mfma_f32_16x16x32_fp8_fp8 v[12:15], a[238:239], a[6:7], v[12:15]// 000000011838: D3F3000C 1C320DEE
	v_fma_f32 v128, v8, v6, v128                               // 000000011840: D1CB0080 06020D08
	v_fma_f32 v129, v9, v6, v129                               // 000000011848: D1CB0081 06060D09
	v_fma_f32 v130, v10, v6, v130                              // 000000011850: D1CB0082 060A0D0A
	v_fma_f32 v131, v11, v6, v131                              // 000000011858: D1CB0083 060E0D0B
	v_mul_f32_dpp v4, v25, v37 row_newbcast:0 row_mask:0xf bank_mask:0xf// 000000011860: 0A084AFA FF015019
	v_mfma_f32_16x16x32_fp8_fp8 v[8:11], a[176:177], a[8:9], 0 // 000000011868: D3F30008 1A0211B0
	buffer_load_dwordx4 a[144:147], v52, s[24:27], 0 offen     // 000000011870: E05C1000 80869034
	v_mfma_f32_16x16x32_fp8_fp8 v[8:11], a[178:179], a[10:11], v[8:11]// 000000011878: D3F30008 1C2215B2
	v_mfma_f32_16x16x32_fp8_fp8 v[8:11], a[180:181], a[12:13], v[8:11]// 000000011880: D3F30008 1C2219B4
	v_mfma_f32_16x16x32_fp8_fp8 v[8:11], a[182:183], a[14:15], v[8:11]// 000000011888: D3F30008 1C221DB6
	v_fma_f32 v140, v12, v6, v140                              // 000000011890: D1CB008C 06320D0C
	v_fma_f32 v141, v13, v6, v141                              // 000000011898: D1CB008D 06360D0D
	v_fma_f32 v142, v14, v6, v142                              // 0000000118A0: D1CB008E 063A0D0E
	v_fma_f32 v143, v15, v6, v143                              // 0000000118A8: D1CB008F 063E0D0F
	v_mfma_f32_16x16x32_fp8_fp8 v[12:15], a[184:185], a[8:9], 0// 0000000118B0: D3F3000C 1A0211B8
	buffer_load_dwordx4 a[148:151], v52, s[24:27], 0 offen offset:1024// 0000000118B8: E05C1400 80869434
	v_mfma_f32_16x16x32_fp8_fp8 v[12:15], a[186:187], a[10:11], v[12:15]// 0000000118C0: D3F3000C 1C3215BA
	v_mfma_f32_16x16x32_fp8_fp8 v[12:15], a[188:189], a[12:13], v[12:15]// 0000000118C8: D3F3000C 1C3219BC
	v_mfma_f32_16x16x32_fp8_fp8 v[12:15], a[190:191], a[14:15], v[12:15]// 0000000118D0: D3F3000C 1C321DBE
	v_fma_f32 v60, v8, v4, v60                                 // 0000000118D8: D1CB003C 04F20908
	v_fma_f32 v61, v9, v4, v61                                 // 0000000118E0: D1CB003D 04F60909
	v_fma_f32 v62, v10, v4, v62                                // 0000000118E8: D1CB003E 04FA090A
	v_fma_f32 v63, v11, v4, v63                                // 0000000118F0: D1CB003F 04FE090B
	v_mul_f32_dpp v6, v25, v37 row_newbcast:1 row_mask:0xf bank_mask:0xf// 0000000118F8: 0A0C4AFA FF015119
	v_mfma_f32_16x16x32_fp8_fp8 v[8:11], a[192:193], a[8:9], 0 // 000000011900: D3F30008 1A0211C0
	buffer_load_dwordx4 a[152:155], v53, s[24:27], 0 offen     // 000000011908: E05C1000 80869835
	v_mfma_f32_16x16x32_fp8_fp8 v[8:11], a[194:195], a[10:11], v[8:11]// 000000011910: D3F30008 1C2215C2
	v_mfma_f32_16x16x32_fp8_fp8 v[8:11], a[196:197], a[12:13], v[8:11]// 000000011918: D3F30008 1C2219C4
	v_mfma_f32_16x16x32_fp8_fp8 v[8:11], a[198:199], a[14:15], v[8:11]// 000000011920: D3F30008 1C221DC6
	v_fma_f32 v72, v12, v4, v72                                // 000000011928: D1CB0048 0522090C
	v_fma_f32 v73, v13, v4, v73                                // 000000011930: D1CB0049 0526090D
	v_fma_f32 v74, v14, v4, v74                                // 000000011938: D1CB004A 052A090E
	v_fma_f32 v75, v15, v4, v75                                // 000000011940: D1CB004B 052E090F
	v_mfma_f32_16x16x32_fp8_fp8 v[12:15], a[200:201], a[8:9], 0// 000000011948: D3F3000C 1A0211C8
	buffer_load_dwordx4 a[156:159], v53, s[24:27], 0 offen offset:1024// 000000011950: E05C1400 80869C35
	v_mfma_f32_16x16x32_fp8_fp8 v[12:15], a[202:203], a[10:11], v[12:15]// 000000011958: D3F3000C 1C3215CA
	v_mfma_f32_16x16x32_fp8_fp8 v[12:15], a[204:205], a[12:13], v[12:15]// 000000011960: D3F3000C 1C3219CC
	v_mfma_f32_16x16x32_fp8_fp8 v[12:15], a[206:207], a[14:15], v[12:15]// 000000011968: D3F3000C 1C321DCE
	v_fma_f32 v84, v8, v6, v84                                 // 000000011970: D1CB0054 05520D08
	v_fma_f32 v85, v9, v6, v85                                 // 000000011978: D1CB0055 05560D09
	v_fma_f32 v86, v10, v6, v86                                // 000000011980: D1CB0056 055A0D0A
	v_fma_f32 v87, v11, v6, v87                                // 000000011988: D1CB0057 055E0D0B
	v_mul_f32_dpp v4, v25, v37 row_newbcast:2 row_mask:0xf bank_mask:0xf// 000000011990: 0A084AFA FF015219
	v_mfma_f32_16x16x32_fp8_fp8 v[8:11], a[208:209], a[8:9], 0 // 000000011998: D3F30008 1A0211D0
	buffer_load_dwordx4 a[160:163], v54, s[24:27], 0 offen     // 0000000119A0: E05C1000 8086A036
	v_mfma_f32_16x16x32_fp8_fp8 v[8:11], a[210:211], a[10:11], v[8:11]// 0000000119A8: D3F30008 1C2215D2
	v_mfma_f32_16x16x32_fp8_fp8 v[8:11], a[212:213], a[12:13], v[8:11]// 0000000119B0: D3F30008 1C2219D4
	v_mfma_f32_16x16x32_fp8_fp8 v[8:11], a[214:215], a[14:15], v[8:11]// 0000000119B8: D3F30008 1C221DD6
	v_fma_f32 v96, v12, v6, v96                                // 0000000119C0: D1CB0060 05820D0C
	v_fma_f32 v97, v13, v6, v97                                // 0000000119C8: D1CB0061 05860D0D
	v_fma_f32 v98, v14, v6, v98                                // 0000000119D0: D1CB0062 058A0D0E
	v_fma_f32 v99, v15, v6, v99                                // 0000000119D8: D1CB0063 058E0D0F
	v_mfma_f32_16x16x32_fp8_fp8 v[12:15], a[216:217], a[8:9], 0// 0000000119E0: D3F3000C 1A0211D8
	buffer_load_dwordx4 a[164:167], v54, s[24:27], 0 offen offset:1024// 0000000119E8: E05C1400 8086A436
	v_mfma_f32_16x16x32_fp8_fp8 v[12:15], a[218:219], a[10:11], v[12:15]// 0000000119F0: D3F3000C 1C3215DA
	v_mfma_f32_16x16x32_fp8_fp8 v[12:15], a[220:221], a[12:13], v[12:15]// 0000000119F8: D3F3000C 1C3219DC
	v_mfma_f32_16x16x32_fp8_fp8 v[12:15], a[222:223], a[14:15], v[12:15]// 000000011A00: D3F3000C 1C321DDE
	v_fma_f32 v108, v8, v4, v108                               // 000000011A08: D1CB006C 05B20908
	v_fma_f32 v109, v9, v4, v109                               // 000000011A10: D1CB006D 05B60909
	v_fma_f32 v110, v10, v4, v110                              // 000000011A18: D1CB006E 05BA090A
	v_fma_f32 v111, v11, v4, v111                              // 000000011A20: D1CB006F 05BE090B
	v_mul_f32_dpp v6, v25, v37 row_newbcast:3 row_mask:0xf bank_mask:0xf// 000000011A28: 0A0C4AFA FF015319
	v_mfma_f32_16x16x32_fp8_fp8 v[8:11], a[224:225], a[8:9], 0 // 000000011A30: D3F30008 1A0211E0
	buffer_load_dwordx4 a[168:171], v55, s[24:27], 0 offen     // 000000011A38: E05C1000 8086A837
	v_mfma_f32_16x16x32_fp8_fp8 v[8:11], a[226:227], a[10:11], v[8:11]// 000000011A40: D3F30008 1C2215E2
	v_mfma_f32_16x16x32_fp8_fp8 v[8:11], a[228:229], a[12:13], v[8:11]// 000000011A48: D3F30008 1C2219E4
	v_mfma_f32_16x16x32_fp8_fp8 v[8:11], a[230:231], a[14:15], v[8:11]// 000000011A50: D3F30008 1C221DE6
	v_fma_f32 v120, v12, v4, v120                              // 000000011A58: D1CB0078 05E2090C
	v_fma_f32 v121, v13, v4, v121                              // 000000011A60: D1CB0079 05E6090D
	v_fma_f32 v122, v14, v4, v122                              // 000000011A68: D1CB007A 05EA090E
	v_fma_f32 v123, v15, v4, v123                              // 000000011A70: D1CB007B 05EE090F
	v_mfma_f32_16x16x32_fp8_fp8 v[12:15], a[232:233], a[8:9], 0// 000000011A78: D3F3000C 1A0211E8
	buffer_load_dwordx4 a[172:175], v55, s[24:27], 0 offen offset:1024// 000000011A80: E05C1400 8086AC37
	buffer_load_dword v42, s[20:23], 0 offen lds               // 000000011A88: E0511000 8005002A
	s_add_u32 m0, 0x100, s48                                   // 000000011A90: 807C30FF 00000100
	v_mfma_f32_16x16x32_fp8_fp8 v[12:15], a[234:235], a[10:11], v[12:15]// 000000011A98: D3F3000C 1C3215EA
	v_mfma_f32_16x16x32_fp8_fp8 v[12:15], a[236:237], a[12:13], v[12:15]// 000000011AA0: D3F3000C 1C3219EC
	buffer_load_dword v43, s[20:23], 0 offen lds               // 000000011AA8: E0511000 8005002B
	s_add_u32 m0, 0x200, s48                                   // 000000011AB0: 807C30FF 00000200
	v_mfma_f32_16x16x32_fp8_fp8 v[12:15], a[238:239], a[14:15], v[12:15]// 000000011AB8: D3F3000C 1C321DEE
	v_fma_f32 v132, v8, v6, v132                               // 000000011AC0: D1CB0084 06120D08
	v_fma_f32 v133, v9, v6, v133                               // 000000011AC8: D1CB0085 06160D09
	v_fma_f32 v134, v10, v6, v134                              // 000000011AD0: D1CB0086 061A0D0A
	v_fma_f32 v135, v11, v6, v135                              // 000000011AD8: D1CB0087 061E0D0B
	v_mul_f32_dpp v4, v25, v38 row_newbcast:0 row_mask:0xf bank_mask:0xf// 000000011AE0: 0A084CFA FF015019
	v_mfma_f32_16x16x32_fp8_fp8 v[8:11], a[176:177], a[16:17], 0// 000000011AE8: D3F30008 1A0221B0
	buffer_load_dword v44, s[20:23], 0 offen lds               // 000000011AF0: E0511000 8005002C
	s_add_u32 m0, 0x300, s48                                   // 000000011AF8: 807C30FF 00000300
	v_mfma_f32_16x16x32_fp8_fp8 v[8:11], a[178:179], a[18:19], v[8:11]// 000000011B00: D3F30008 1C2225B2
	v_mfma_f32_16x16x32_fp8_fp8 v[8:11], a[180:181], a[20:21], v[8:11]// 000000011B08: D3F30008 1C2229B4
	buffer_load_dword v45, s[20:23], 0 offen lds               // 000000011B10: E0511000 8005002D
	s_add_u32 m0, 0x400, s48                                   // 000000011B18: 807C30FF 00000400
	v_mfma_f32_16x16x32_fp8_fp8 v[8:11], a[182:183], a[22:23], v[8:11]// 000000011B20: D3F30008 1C222DB6
	v_fma_f32 v144, v12, v6, v144                              // 000000011B28: D1CB0090 06420D0C
	v_fma_f32 v145, v13, v6, v145                              // 000000011B30: D1CB0091 06460D0D
	v_fma_f32 v146, v14, v6, v146                              // 000000011B38: D1CB0092 064A0D0E
	v_fma_f32 v147, v15, v6, v147                              // 000000011B40: D1CB0093 064E0D0F
	v_mfma_f32_16x16x32_fp8_fp8 v[12:15], a[184:185], a[16:17], 0// 000000011B48: D3F3000C 1A0221B8
	buffer_load_dword v46, s[20:23], 0 offen lds               // 000000011B50: E0511000 8005002E
	s_add_u32 m0, 0x500, s48                                   // 000000011B58: 807C30FF 00000500
	v_mfma_f32_16x16x32_fp8_fp8 v[12:15], a[186:187], a[18:19], v[12:15]// 000000011B60: D3F3000C 1C3225BA
	v_mfma_f32_16x16x32_fp8_fp8 v[12:15], a[188:189], a[20:21], v[12:15]// 000000011B68: D3F3000C 1C3229BC
	buffer_load_dword v47, s[20:23], 0 offen lds               // 000000011B70: E0511000 8005002F
	s_add_u32 m0, 0, s49                                       // 000000011B78: 807C3180
	v_mfma_f32_16x16x32_fp8_fp8 v[12:15], a[190:191], a[22:23], v[12:15]// 000000011B7C: D3F3000C 1C322DBE
	v_fma_f32 v64, v8, v4, v64                                 // 000000011B84: D1CB0040 05020908
	v_fma_f32 v65, v9, v4, v65                                 // 000000011B8C: D1CB0041 05060909
	v_fma_f32 v66, v10, v4, v66                                // 000000011B94: D1CB0042 050A090A
	v_fma_f32 v67, v11, v4, v67                                // 000000011B9C: D1CB0043 050E090B
	v_mul_f32_dpp v6, v25, v38 row_newbcast:1 row_mask:0xf bank_mask:0xf// 000000011BA4: 0A0C4CFA FF015119
	v_mfma_f32_16x16x32_fp8_fp8 v[8:11], a[192:193], a[16:17], 0// 000000011BAC: D3F30008 1A0221C0
	buffer_load_dword v33, v30, s[28:31], 0 offen              // 000000011BB4: E0501000 8007211E
	v_mfma_f32_16x16x32_fp8_fp8 v[8:11], a[194:195], a[18:19], v[8:11]// 000000011BBC: D3F30008 1C2225C2
	v_mfma_f32_16x16x32_fp8_fp8 v[8:11], a[196:197], a[20:21], v[8:11]// 000000011BC4: D3F30008 1C2229C4
	buffer_load_dword v34, v31, s[28:31], 0 offen              // 000000011BCC: E0501000 8007221F
	v_mfma_f32_16x16x32_fp8_fp8 v[8:11], a[198:199], a[22:23], v[8:11]// 000000011BD4: D3F30008 1C222DC6
	v_fma_f32 v76, v12, v4, v76                                // 000000011BDC: D1CB004C 0532090C
	v_fma_f32 v77, v13, v4, v77                                // 000000011BE4: D1CB004D 0536090D
	v_fma_f32 v78, v14, v4, v78                                // 000000011BEC: D1CB004E 053A090E
	v_fma_f32 v79, v15, v4, v79                                // 000000011BF4: D1CB004F 053E090F
	v_mfma_f32_16x16x32_fp8_fp8 v[12:15], a[200:201], a[16:17], 0// 000000011BFC: D3F3000C 1A0221C8
	buffer_load_dword v35, v32, s[28:31], 0 offen              // 000000011C04: E0501000 80072320
	v_mfma_f32_16x16x32_fp8_fp8 v[12:15], a[202:203], a[18:19], v[12:15]// 000000011C0C: D3F3000C 1C3225CA
	v_mfma_f32_16x16x32_fp8_fp8 v[12:15], a[204:205], a[20:21], v[12:15]// 000000011C14: D3F3000C 1C3229CC
	v_mfma_f32_16x16x32_fp8_fp8 v[12:15], a[206:207], a[22:23], v[12:15]// 000000011C1C: D3F3000C 1C322DCE
	v_fma_f32 v88, v8, v6, v88                                 // 000000011C24: D1CB0058 05620D08
	v_fma_f32 v89, v9, v6, v89                                 // 000000011C2C: D1CB0059 05660D09
	v_fma_f32 v90, v10, v6, v90                                // 000000011C34: D1CB005A 056A0D0A
	v_fma_f32 v91, v11, v6, v91                                // 000000011C3C: D1CB005B 056E0D0B
	v_mul_f32_dpp v4, v25, v38 row_newbcast:2 row_mask:0xf bank_mask:0xf// 000000011C44: 0A084CFA FF015219
	v_mfma_f32_16x16x32_fp8_fp8 v[8:11], a[208:209], a[16:17], 0// 000000011C4C: D3F30008 1A0221D0
	v_mfma_f32_16x16x32_fp8_fp8 v[8:11], a[210:211], a[18:19], v[8:11]// 000000011C54: D3F30008 1C2225D2
	v_mfma_f32_16x16x32_fp8_fp8 v[8:11], a[212:213], a[20:21], v[8:11]// 000000011C5C: D3F30008 1C2229D4
	v_mfma_f32_16x16x32_fp8_fp8 v[8:11], a[214:215], a[22:23], v[8:11]// 000000011C64: D3F30008 1C222DD6
	v_fma_f32 v100, v12, v6, v100                              // 000000011C6C: D1CB0064 05920D0C
	v_fma_f32 v101, v13, v6, v101                              // 000000011C74: D1CB0065 05960D0D
	v_fma_f32 v102, v14, v6, v102                              // 000000011C7C: D1CB0066 059A0D0E
	v_fma_f32 v103, v15, v6, v103                              // 000000011C84: D1CB0067 059E0D0F
	v_mfma_f32_16x16x32_fp8_fp8 v[12:15], a[216:217], a[16:17], 0// 000000011C8C: D3F3000C 1A0221D8
	v_mfma_f32_16x16x32_fp8_fp8 v[12:15], a[218:219], a[18:19], v[12:15]// 000000011C94: D3F3000C 1C3225DA
	v_mfma_f32_16x16x32_fp8_fp8 v[12:15], a[220:221], a[20:21], v[12:15]// 000000011C9C: D3F3000C 1C3229DC
	v_mfma_f32_16x16x32_fp8_fp8 v[12:15], a[222:223], a[22:23], v[12:15]// 000000011CA4: D3F3000C 1C322DDE
	v_fma_f32 v112, v8, v4, v112                               // 000000011CAC: D1CB0070 05C20908
	v_fma_f32 v113, v9, v4, v113                               // 000000011CB4: D1CB0071 05C60909
	v_fma_f32 v114, v10, v4, v114                              // 000000011CBC: D1CB0072 05CA090A
	v_fma_f32 v115, v11, v4, v115                              // 000000011CC4: D1CB0073 05CE090B
	v_mul_f32_dpp v6, v25, v38 row_newbcast:3 row_mask:0xf bank_mask:0xf// 000000011CCC: 0A0C4CFA FF015319
	v_mfma_f32_16x16x32_fp8_fp8 v[8:11], a[224:225], a[16:17], 0// 000000011CD4: D3F30008 1A0221E0
	v_mfma_f32_16x16x32_fp8_fp8 v[8:11], a[226:227], a[18:19], v[8:11]// 000000011CDC: D3F30008 1C2225E2
	v_mfma_f32_16x16x32_fp8_fp8 v[8:11], a[228:229], a[20:21], v[8:11]// 000000011CE4: D3F30008 1C2229E4
	v_mfma_f32_16x16x32_fp8_fp8 v[8:11], a[230:231], a[22:23], v[8:11]// 000000011CEC: D3F30008 1C222DE6
	v_fma_f32 v124, v12, v4, v124                              // 000000011CF4: D1CB007C 05F2090C
	v_fma_f32 v125, v13, v4, v125                              // 000000011CFC: D1CB007D 05F6090D
	v_fma_f32 v126, v14, v4, v126                              // 000000011D04: D1CB007E 05FA090E
	v_fma_f32 v127, v15, v4, v127                              // 000000011D0C: D1CB007F 05FE090F
	v_mfma_f32_16x16x32_fp8_fp8 v[12:15], a[232:233], a[16:17], 0// 000000011D14: D3F3000C 1A0221E8
	v_mfma_f32_16x16x32_fp8_fp8 v[12:15], a[234:235], a[18:19], v[12:15]// 000000011D1C: D3F3000C 1C3225EA
	v_mfma_f32_16x16x32_fp8_fp8 v[12:15], a[236:237], a[20:21], v[12:15]// 000000011D24: D3F3000C 1C3229EC
	v_mfma_f32_16x16x32_fp8_fp8 v[12:15], a[238:239], a[22:23], v[12:15]// 000000011D2C: D3F3000C 1C322DEE
	v_fma_f32 v136, v8, v6, v136                               // 000000011D34: D1CB0088 06220D08
	v_fma_f32 v137, v9, v6, v137                               // 000000011D3C: D1CB0089 06260D09
	v_fma_f32 v138, v10, v6, v138                              // 000000011D44: D1CB008A 062A0D0A
	v_fma_f32 v139, v11, v6, v139                              // 000000011D4C: D1CB008B 062E0D0B
	v_fma_f32 v148, v12, v6, v148                              // 000000011D54: D1CB0094 06520D0C
	v_fma_f32 v149, v13, v6, v149                              // 000000011D5C: D1CB0095 06560D0D
	v_fma_f32 v150, v14, v6, v150                              // 000000011D64: D1CB0096 065A0D0E
	v_fma_f32 v151, v15, v6, v151                              // 000000011D6C: D1CB0097 065E0D0F
	s_waitcnt vmcnt(26)                                        // 000000011D74: BF8C4F7A
	s_barrier                                                  // 000000011D78: BF8A0000
	v_mul_f32_dpp v4, v28, v36 row_newbcast:0 row_mask:0xf bank_mask:0xf// 000000011D7C: 0A0848FA FF01501C
	v_mfma_f32_16x16x32_fp8_fp8 v[8:11], a[48:49], a[0:1], 0   // 000000011D84: D3F30008 1A020130
	buffer_load_dword v29, v23, s[32:35], 0 offen              // 000000011D8C: E0501000 80081D17
	buffer_load_dwordx4 a[176:179], v48, s[84:87], 0 offen     // 000000011D94: E05C1000 8095B030
	v_mfma_f32_16x16x32_fp8_fp8 v[8:11], a[50:51], a[2:3], v[8:11]// 000000011D9C: D3F30008 1C220532
	v_mfma_f32_16x16x32_fp8_fp8 v[8:11], a[52:53], a[4:5], v[8:11]// 000000011DA4: D3F30008 1C220934
	ds_read_b128 a[24:27], v2 offset:12544                     // 000000011DAC: DBFE3100 18000002
	ds_read_b128 a[28:31], v2 offset:12608                     // 000000011DB4: DBFE3140 1C000002
	v_mfma_f32_16x16x32_fp8_fp8 v[8:11], a[54:55], a[6:7], v[8:11]// 000000011DBC: D3F30008 1C220D36
	v_mfma_f32_16x16x32_fp8_fp8 v[12:15], a[56:57], a[0:1], 0  // 000000011DC4: D3F3000C 1A020138
	buffer_load_dwordx4 a[180:183], v48, s[84:87], 0 offen offset:1024// 000000011DCC: E05C1400 8095B430
	v_mfma_f32_16x16x32_fp8_fp8 v[12:15], a[58:59], a[2:3], v[12:15]// 000000011DD4: D3F3000C 1C32053A
	v_mfma_f32_16x16x32_fp8_fp8 v[12:15], a[60:61], a[4:5], v[12:15]// 000000011DDC: D3F3000C 1C32093C
	ds_read_b128 a[32:35], v2 offset:13056                     // 000000011DE4: DBFE3300 20000002
	ds_read_b128 a[36:39], v2 offset:13120                     // 000000011DEC: DBFE3340 24000002
	v_mfma_f32_16x16x32_fp8_fp8 v[12:15], a[62:63], a[6:7], v[12:15]// 000000011DF4: D3F3000C 1C320D3E
	v_fma_f32 v152, v8, v4, v152                               // 000000011DFC: D1CB0098 06620908
	v_fma_f32 v153, v9, v4, v153                               // 000000011E04: D1CB0099 06660909
	v_fma_f32 v154, v10, v4, v154                              // 000000011E0C: D1CB009A 066A090A
	v_fma_f32 v155, v11, v4, v155                              // 000000011E14: D1CB009B 066E090B
	v_mul_f32_dpp v6, v28, v36 row_newbcast:1 row_mask:0xf bank_mask:0xf// 000000011E1C: 0A0C48FA FF01511C
	v_mfma_f32_16x16x32_fp8_fp8 v[8:11], a[64:65], a[0:1], 0   // 000000011E24: D3F30008 1A020140
	buffer_load_dwordx4 a[184:187], v49, s[84:87], 0 offen     // 000000011E2C: E05C1000 8095B831
	v_mfma_f32_16x16x32_fp8_fp8 v[8:11], a[66:67], a[2:3], v[8:11]// 000000011E34: D3F30008 1C220542
	v_mfma_f32_16x16x32_fp8_fp8 v[8:11], a[68:69], a[4:5], v[8:11]// 000000011E3C: D3F30008 1C220944
	ds_read_b128 a[40:43], v2 offset:13568                     // 000000011E44: DBFE3500 28000002
	ds_read_b128 a[44:47], v2 offset:13632                     // 000000011E4C: DBFE3540 2C000002
	v_mfma_f32_16x16x32_fp8_fp8 v[8:11], a[70:71], a[6:7], v[8:11]// 000000011E54: D3F30008 1C220D46
	v_fma_f32 v164, v12, v4, v164                              // 000000011E5C: D1CB00A4 0692090C
	v_fma_f32 v165, v13, v4, v165                              // 000000011E64: D1CB00A5 0696090D
	v_fma_f32 v166, v14, v4, v166                              // 000000011E6C: D1CB00A6 069A090E
	v_fma_f32 v167, v15, v4, v167                              // 000000011E74: D1CB00A7 069E090F
	v_mfma_f32_16x16x32_fp8_fp8 v[12:15], a[72:73], a[0:1], 0  // 000000011E7C: D3F3000C 1A020148
	buffer_load_dwordx4 a[188:191], v49, s[84:87], 0 offen offset:1024// 000000011E84: E05C1400 8095BC31
	v_mfma_f32_16x16x32_fp8_fp8 v[12:15], a[74:75], a[2:3], v[12:15]// 000000011E8C: D3F3000C 1C32054A
	v_mfma_f32_16x16x32_fp8_fp8 v[12:15], a[76:77], a[4:5], v[12:15]// 000000011E94: D3F3000C 1C32094C
	v_mfma_f32_16x16x32_fp8_fp8 v[12:15], a[78:79], a[6:7], v[12:15]// 000000011E9C: D3F3000C 1C320D4E
	v_fma_f32 v176, v8, v6, v176                               // 000000011EA4: D1CB00B0 06C20D08
	v_fma_f32 v177, v9, v6, v177                               // 000000011EAC: D1CB00B1 06C60D09
	v_fma_f32 v178, v10, v6, v178                              // 000000011EB4: D1CB00B2 06CA0D0A
	v_fma_f32 v179, v11, v6, v179                              // 000000011EBC: D1CB00B3 06CE0D0B
	v_mul_f32_dpp v4, v28, v36 row_newbcast:2 row_mask:0xf bank_mask:0xf// 000000011EC4: 0A0848FA FF01521C
	v_mfma_f32_16x16x32_fp8_fp8 v[8:11], a[80:81], a[0:1], 0   // 000000011ECC: D3F30008 1A020150
	buffer_load_dwordx4 a[192:195], v50, s[84:87], 0 offen     // 000000011ED4: E05C1000 8095C032
	v_mfma_f32_16x16x32_fp8_fp8 v[8:11], a[82:83], a[2:3], v[8:11]// 000000011EDC: D3F30008 1C220552
	v_mfma_f32_16x16x32_fp8_fp8 v[8:11], a[84:85], a[4:5], v[8:11]// 000000011EE4: D3F30008 1C220954
	v_mfma_f32_16x16x32_fp8_fp8 v[8:11], a[86:87], a[6:7], v[8:11]// 000000011EEC: D3F30008 1C220D56
	v_fma_f32 v188, v12, v6, v188                              // 000000011EF4: D1CB00BC 06F20D0C
	v_fma_f32 v189, v13, v6, v189                              // 000000011EFC: D1CB00BD 06F60D0D
	v_fma_f32 v190, v14, v6, v190                              // 000000011F04: D1CB00BE 06FA0D0E
	v_fma_f32 v191, v15, v6, v191                              // 000000011F0C: D1CB00BF 06FE0D0F
	v_mfma_f32_16x16x32_fp8_fp8 v[12:15], a[88:89], a[0:1], 0  // 000000011F14: D3F3000C 1A020158
	buffer_load_dwordx4 a[196:199], v50, s[84:87], 0 offen offset:1024// 000000011F1C: E05C1400 8095C432
	v_mfma_f32_16x16x32_fp8_fp8 v[12:15], a[90:91], a[2:3], v[12:15]// 000000011F24: D3F3000C 1C32055A
	v_mfma_f32_16x16x32_fp8_fp8 v[12:15], a[92:93], a[4:5], v[12:15]// 000000011F2C: D3F3000C 1C32095C
	v_mfma_f32_16x16x32_fp8_fp8 v[12:15], a[94:95], a[6:7], v[12:15]// 000000011F34: D3F3000C 1C320D5E
	v_fma_f32 v200, v8, v4, v200                               // 000000011F3C: D1CB00C8 07220908
	v_fma_f32 v201, v9, v4, v201                               // 000000011F44: D1CB00C9 07260909
	v_fma_f32 v202, v10, v4, v202                              // 000000011F4C: D1CB00CA 072A090A
	v_fma_f32 v203, v11, v4, v203                              // 000000011F54: D1CB00CB 072E090B
	v_mul_f32_dpp v6, v28, v36 row_newbcast:3 row_mask:0xf bank_mask:0xf// 000000011F5C: 0A0C48FA FF01531C
	v_mfma_f32_16x16x32_fp8_fp8 v[8:11], a[96:97], a[0:1], 0   // 000000011F64: D3F30008 1A020160
	buffer_load_dwordx4 a[200:203], v51, s[84:87], 0 offen     // 000000011F6C: E05C1000 8095C833
	v_mfma_f32_16x16x32_fp8_fp8 v[8:11], a[98:99], a[2:3], v[8:11]// 000000011F74: D3F30008 1C220562
	v_mfma_f32_16x16x32_fp8_fp8 v[8:11], a[100:101], a[4:5], v[8:11]// 000000011F7C: D3F30008 1C220964
	v_mfma_f32_16x16x32_fp8_fp8 v[8:11], a[102:103], a[6:7], v[8:11]// 000000011F84: D3F30008 1C220D66
	v_fma_f32 v212, v12, v4, v212                              // 000000011F8C: D1CB00D4 0752090C
	v_fma_f32 v213, v13, v4, v213                              // 000000011F94: D1CB00D5 0756090D
	v_fma_f32 v214, v14, v4, v214                              // 000000011F9C: D1CB00D6 075A090E
	v_fma_f32 v215, v15, v4, v215                              // 000000011FA4: D1CB00D7 075E090F
	v_mfma_f32_16x16x32_fp8_fp8 v[12:15], a[104:105], a[0:1], 0// 000000011FAC: D3F3000C 1A020168
	buffer_load_dwordx4 a[204:207], v51, s[84:87], 0 offen offset:1024// 000000011FB4: E05C1400 8095CC33
	v_mfma_f32_16x16x32_fp8_fp8 v[12:15], a[106:107], a[2:3], v[12:15]// 000000011FBC: D3F3000C 1C32056A
	v_mfma_f32_16x16x32_fp8_fp8 v[12:15], a[108:109], a[4:5], v[12:15]// 000000011FC4: D3F3000C 1C32096C
	v_mfma_f32_16x16x32_fp8_fp8 v[12:15], a[110:111], a[6:7], v[12:15]// 000000011FCC: D3F3000C 1C320D6E
	v_fma_f32 v224, v8, v6, v224                               // 000000011FD4: D1CB00E0 07820D08
	v_fma_f32 v225, v9, v6, v225                               // 000000011FDC: D1CB00E1 07860D09
	v_fma_f32 v226, v10, v6, v226                              // 000000011FE4: D1CB00E2 078A0D0A
	v_fma_f32 v227, v11, v6, v227                              // 000000011FEC: D1CB00E3 078E0D0B
	v_mul_f32_dpp v4, v28, v37 row_newbcast:0 row_mask:0xf bank_mask:0xf// 000000011FF4: 0A084AFA FF01501C
	v_mfma_f32_16x16x32_fp8_fp8 v[8:11], a[48:49], a[8:9], 0   // 000000011FFC: D3F30008 1A021130
	buffer_load_dwordx4 a[208:211], v52, s[84:87], 0 offen     // 000000012004: E05C1000 8095D034
	v_mfma_f32_16x16x32_fp8_fp8 v[8:11], a[50:51], a[10:11], v[8:11]// 00000001200C: D3F30008 1C221532
	v_mfma_f32_16x16x32_fp8_fp8 v[8:11], a[52:53], a[12:13], v[8:11]// 000000012014: D3F30008 1C221934
	v_mfma_f32_16x16x32_fp8_fp8 v[8:11], a[54:55], a[14:15], v[8:11]// 00000001201C: D3F30008 1C221D36
	v_fma_f32 v236, v12, v6, v236                              // 000000012024: D1CB00EC 07B20D0C
	v_fma_f32 v237, v13, v6, v237                              // 00000001202C: D1CB00ED 07B60D0D
	v_fma_f32 v238, v14, v6, v238                              // 000000012034: D1CB00EE 07BA0D0E
	v_fma_f32 v239, v15, v6, v239                              // 00000001203C: D1CB00EF 07BE0D0F
	v_mfma_f32_16x16x32_fp8_fp8 v[12:15], a[56:57], a[8:9], 0  // 000000012044: D3F3000C 1A021138
	buffer_load_dwordx4 a[212:215], v52, s[84:87], 0 offen offset:1024// 00000001204C: E05C1400 8095D434
	v_mfma_f32_16x16x32_fp8_fp8 v[12:15], a[58:59], a[10:11], v[12:15]// 000000012054: D3F3000C 1C32153A
	v_mfma_f32_16x16x32_fp8_fp8 v[12:15], a[60:61], a[12:13], v[12:15]// 00000001205C: D3F3000C 1C32193C
	v_mfma_f32_16x16x32_fp8_fp8 v[12:15], a[62:63], a[14:15], v[12:15]// 000000012064: D3F3000C 1C321D3E
	v_fma_f32 v156, v8, v4, v156                               // 00000001206C: D1CB009C 06720908
	v_fma_f32 v157, v9, v4, v157                               // 000000012074: D1CB009D 06760909
	v_fma_f32 v158, v10, v4, v158                              // 00000001207C: D1CB009E 067A090A
	v_fma_f32 v159, v11, v4, v159                              // 000000012084: D1CB009F 067E090B
	v_mul_f32_dpp v6, v28, v37 row_newbcast:1 row_mask:0xf bank_mask:0xf// 00000001208C: 0A0C4AFA FF01511C
	v_mfma_f32_16x16x32_fp8_fp8 v[8:11], a[64:65], a[8:9], 0   // 000000012094: D3F30008 1A021140
	buffer_load_dwordx4 a[216:219], v53, s[84:87], 0 offen     // 00000001209C: E05C1000 8095D835
	v_mfma_f32_16x16x32_fp8_fp8 v[8:11], a[66:67], a[10:11], v[8:11]// 0000000120A4: D3F30008 1C221542
	v_mfma_f32_16x16x32_fp8_fp8 v[8:11], a[68:69], a[12:13], v[8:11]// 0000000120AC: D3F30008 1C221944
	v_mfma_f32_16x16x32_fp8_fp8 v[8:11], a[70:71], a[14:15], v[8:11]// 0000000120B4: D3F30008 1C221D46
	v_fma_f32 v168, v12, v4, v168                              // 0000000120BC: D1CB00A8 06A2090C
	v_fma_f32 v169, v13, v4, v169                              // 0000000120C4: D1CB00A9 06A6090D
	v_fma_f32 v170, v14, v4, v170                              // 0000000120CC: D1CB00AA 06AA090E
	v_fma_f32 v171, v15, v4, v171                              // 0000000120D4: D1CB00AB 06AE090F
	v_mfma_f32_16x16x32_fp8_fp8 v[12:15], a[72:73], a[8:9], 0  // 0000000120DC: D3F3000C 1A021148
	buffer_load_dwordx4 a[220:223], v53, s[84:87], 0 offen offset:1024// 0000000120E4: E05C1400 8095DC35
	v_mfma_f32_16x16x32_fp8_fp8 v[12:15], a[74:75], a[10:11], v[12:15]// 0000000120EC: D3F3000C 1C32154A
	v_mfma_f32_16x16x32_fp8_fp8 v[12:15], a[76:77], a[12:13], v[12:15]// 0000000120F4: D3F3000C 1C32194C
	v_mfma_f32_16x16x32_fp8_fp8 v[12:15], a[78:79], a[14:15], v[12:15]// 0000000120FC: D3F3000C 1C321D4E
	v_fma_f32 v180, v8, v6, v180                               // 000000012104: D1CB00B4 06D20D08
	v_fma_f32 v181, v9, v6, v181                               // 00000001210C: D1CB00B5 06D60D09
	v_fma_f32 v182, v10, v6, v182                              // 000000012114: D1CB00B6 06DA0D0A
	v_fma_f32 v183, v11, v6, v183                              // 00000001211C: D1CB00B7 06DE0D0B
	v_mul_f32_dpp v4, v28, v37 row_newbcast:2 row_mask:0xf bank_mask:0xf// 000000012124: 0A084AFA FF01521C
	v_mfma_f32_16x16x32_fp8_fp8 v[8:11], a[80:81], a[8:9], 0   // 00000001212C: D3F30008 1A021150
	buffer_load_dwordx4 a[224:227], v54, s[84:87], 0 offen     // 000000012134: E05C1000 8095E036
	v_mfma_f32_16x16x32_fp8_fp8 v[8:11], a[82:83], a[10:11], v[8:11]// 00000001213C: D3F30008 1C221552
	v_mfma_f32_16x16x32_fp8_fp8 v[8:11], a[84:85], a[12:13], v[8:11]// 000000012144: D3F30008 1C221954
	v_mfma_f32_16x16x32_fp8_fp8 v[8:11], a[86:87], a[14:15], v[8:11]// 00000001214C: D3F30008 1C221D56
	v_fma_f32 v192, v12, v6, v192                              // 000000012154: D1CB00C0 07020D0C
	v_fma_f32 v193, v13, v6, v193                              // 00000001215C: D1CB00C1 07060D0D
	v_fma_f32 v194, v14, v6, v194                              // 000000012164: D1CB00C2 070A0D0E
	v_fma_f32 v195, v15, v6, v195                              // 00000001216C: D1CB00C3 070E0D0F
	v_mfma_f32_16x16x32_fp8_fp8 v[12:15], a[88:89], a[8:9], 0  // 000000012174: D3F3000C 1A021158
	buffer_load_dwordx4 a[228:231], v54, s[84:87], 0 offen offset:1024// 00000001217C: E05C1400 8095E436
	v_mfma_f32_16x16x32_fp8_fp8 v[12:15], a[90:91], a[10:11], v[12:15]// 000000012184: D3F3000C 1C32155A
	v_mfma_f32_16x16x32_fp8_fp8 v[12:15], a[92:93], a[12:13], v[12:15]// 00000001218C: D3F3000C 1C32195C
	v_mfma_f32_16x16x32_fp8_fp8 v[12:15], a[94:95], a[14:15], v[12:15]// 000000012194: D3F3000C 1C321D5E
	v_fma_f32 v204, v8, v4, v204                               // 00000001219C: D1CB00CC 07320908
	v_fma_f32 v205, v9, v4, v205                               // 0000000121A4: D1CB00CD 07360909
	v_fma_f32 v206, v10, v4, v206                              // 0000000121AC: D1CB00CE 073A090A
	v_fma_f32 v207, v11, v4, v207                              // 0000000121B4: D1CB00CF 073E090B
	v_mul_f32_dpp v6, v28, v37 row_newbcast:3 row_mask:0xf bank_mask:0xf// 0000000121BC: 0A0C4AFA FF01531C
	v_mfma_f32_16x16x32_fp8_fp8 v[8:11], a[96:97], a[8:9], 0   // 0000000121C4: D3F30008 1A021160
	buffer_load_dwordx4 a[232:235], v55, s[84:87], 0 offen     // 0000000121CC: E05C1000 8095E837
	v_mfma_f32_16x16x32_fp8_fp8 v[8:11], a[98:99], a[10:11], v[8:11]// 0000000121D4: D3F30008 1C221562
	v_mfma_f32_16x16x32_fp8_fp8 v[8:11], a[100:101], a[12:13], v[8:11]// 0000000121DC: D3F30008 1C221964
	v_mfma_f32_16x16x32_fp8_fp8 v[8:11], a[102:103], a[14:15], v[8:11]// 0000000121E4: D3F30008 1C221D66
	v_fma_f32 v216, v12, v4, v216                              // 0000000121EC: D1CB00D8 0762090C
	v_fma_f32 v217, v13, v4, v217                              // 0000000121F4: D1CB00D9 0766090D
	v_fma_f32 v218, v14, v4, v218                              // 0000000121FC: D1CB00DA 076A090E
	v_fma_f32 v219, v15, v4, v219                              // 000000012204: D1CB00DB 076E090F
	v_mfma_f32_16x16x32_fp8_fp8 v[12:15], a[104:105], a[8:9], 0// 00000001220C: D3F3000C 1A021168
	buffer_load_dwordx4 a[236:239], v55, s[84:87], 0 offen offset:1024// 000000012214: E05C1400 8095EC37
	v_mfma_f32_16x16x32_fp8_fp8 v[12:15], a[106:107], a[10:11], v[12:15]// 00000001221C: D3F3000C 1C32156A
	v_mfma_f32_16x16x32_fp8_fp8 v[12:15], a[108:109], a[12:13], v[12:15]// 000000012224: D3F3000C 1C32196C
	v_mfma_f32_16x16x32_fp8_fp8 v[12:15], a[110:111], a[14:15], v[12:15]// 00000001222C: D3F3000C 1C321D6E
	v_fma_f32 v228, v8, v6, v228                               // 000000012234: D1CB00E4 07920D08
	v_fma_f32 v229, v9, v6, v229                               // 00000001223C: D1CB00E5 07960D09
	v_fma_f32 v230, v10, v6, v230                              // 000000012244: D1CB00E6 079A0D0A
	v_fma_f32 v231, v11, v6, v231                              // 00000001224C: D1CB00E7 079E0D0B
	v_mul_f32_dpp v4, v28, v38 row_newbcast:0 row_mask:0xf bank_mask:0xf// 000000012254: 0A084CFA FF01501C
	v_mfma_f32_16x16x32_fp8_fp8 v[8:11], a[48:49], a[16:17], 0 // 00000001225C: D3F30008 1A022130
	v_mfma_f32_16x16x32_fp8_fp8 v[8:11], a[50:51], a[18:19], v[8:11]// 000000012264: D3F30008 1C222532
	v_mfma_f32_16x16x32_fp8_fp8 v[8:11], a[52:53], a[20:21], v[8:11]// 00000001226C: D3F30008 1C222934
	v_mfma_f32_16x16x32_fp8_fp8 v[8:11], a[54:55], a[22:23], v[8:11]// 000000012274: D3F30008 1C222D36
	v_fma_f32 v240, v12, v6, v240                              // 00000001227C: D1CB00F0 07C20D0C
	v_fma_f32 v241, v13, v6, v241                              // 000000012284: D1CB00F1 07C60D0D
	v_fma_f32 v242, v14, v6, v242                              // 00000001228C: D1CB00F2 07CA0D0E
	v_fma_f32 v243, v15, v6, v243                              // 000000012294: D1CB00F3 07CE0D0F
	v_mfma_f32_16x16x32_fp8_fp8 v[12:15], a[56:57], a[16:17], 0// 00000001229C: D3F3000C 1A022138
	v_mfma_f32_16x16x32_fp8_fp8 v[12:15], a[58:59], a[18:19], v[12:15]// 0000000122A4: D3F3000C 1C32253A
	v_mfma_f32_16x16x32_fp8_fp8 v[12:15], a[60:61], a[20:21], v[12:15]// 0000000122AC: D3F3000C 1C32293C
	v_mfma_f32_16x16x32_fp8_fp8 v[12:15], a[62:63], a[22:23], v[12:15]// 0000000122B4: D3F3000C 1C322D3E
	v_fma_f32 v160, v8, v4, v160                               // 0000000122BC: D1CB00A0 06820908
	v_fma_f32 v161, v9, v4, v161                               // 0000000122C4: D1CB00A1 06860909
	v_fma_f32 v162, v10, v4, v162                              // 0000000122CC: D1CB00A2 068A090A
	v_fma_f32 v163, v11, v4, v163                              // 0000000122D4: D1CB00A3 068E090B
	v_mul_f32_dpp v6, v28, v38 row_newbcast:1 row_mask:0xf bank_mask:0xf// 0000000122DC: 0A0C4CFA FF01511C
	v_mfma_f32_16x16x32_fp8_fp8 v[8:11], a[64:65], a[16:17], 0 // 0000000122E4: D3F30008 1A022140
	v_mfma_f32_16x16x32_fp8_fp8 v[8:11], a[66:67], a[18:19], v[8:11]// 0000000122EC: D3F30008 1C222542
	v_mfma_f32_16x16x32_fp8_fp8 v[8:11], a[68:69], a[20:21], v[8:11]// 0000000122F4: D3F30008 1C222944
	v_mfma_f32_16x16x32_fp8_fp8 v[8:11], a[70:71], a[22:23], v[8:11]// 0000000122FC: D3F30008 1C222D46
	v_fma_f32 v172, v12, v4, v172                              // 000000012304: D1CB00AC 06B2090C
	v_fma_f32 v173, v13, v4, v173                              // 00000001230C: D1CB00AD 06B6090D
	v_fma_f32 v174, v14, v4, v174                              // 000000012314: D1CB00AE 06BA090E
	v_fma_f32 v175, v15, v4, v175                              // 00000001231C: D1CB00AF 06BE090F
	v_mfma_f32_16x16x32_fp8_fp8 v[12:15], a[72:73], a[16:17], 0// 000000012324: D3F3000C 1A022148
	v_mfma_f32_16x16x32_fp8_fp8 v[12:15], a[74:75], a[18:19], v[12:15]// 00000001232C: D3F3000C 1C32254A
	v_mfma_f32_16x16x32_fp8_fp8 v[12:15], a[76:77], a[20:21], v[12:15]// 000000012334: D3F3000C 1C32294C
	v_mfma_f32_16x16x32_fp8_fp8 v[12:15], a[78:79], a[22:23], v[12:15]// 00000001233C: D3F3000C 1C322D4E
	v_fma_f32 v184, v8, v6, v184                               // 000000012344: D1CB00B8 06E20D08
	v_fma_f32 v185, v9, v6, v185                               // 00000001234C: D1CB00B9 06E60D09
	v_fma_f32 v186, v10, v6, v186                              // 000000012354: D1CB00BA 06EA0D0A
	v_fma_f32 v187, v11, v6, v187                              // 00000001235C: D1CB00BB 06EE0D0B
	v_mul_f32_dpp v4, v28, v38 row_newbcast:2 row_mask:0xf bank_mask:0xf// 000000012364: 0A084CFA FF01521C
	v_mfma_f32_16x16x32_fp8_fp8 v[8:11], a[80:81], a[16:17], 0 // 00000001236C: D3F30008 1A022150
	v_mfma_f32_16x16x32_fp8_fp8 v[8:11], a[82:83], a[18:19], v[8:11]// 000000012374: D3F30008 1C222552
	v_mfma_f32_16x16x32_fp8_fp8 v[8:11], a[84:85], a[20:21], v[8:11]// 00000001237C: D3F30008 1C222954
	v_mfma_f32_16x16x32_fp8_fp8 v[8:11], a[86:87], a[22:23], v[8:11]// 000000012384: D3F30008 1C222D56
	v_fma_f32 v196, v12, v6, v196                              // 00000001238C: D1CB00C4 07120D0C
	v_fma_f32 v197, v13, v6, v197                              // 000000012394: D1CB00C5 07160D0D
	v_fma_f32 v198, v14, v6, v198                              // 00000001239C: D1CB00C6 071A0D0E
	v_fma_f32 v199, v15, v6, v199                              // 0000000123A4: D1CB00C7 071E0D0F
	v_mfma_f32_16x16x32_fp8_fp8 v[12:15], a[88:89], a[16:17], 0// 0000000123AC: D3F3000C 1A022158
	v_mfma_f32_16x16x32_fp8_fp8 v[12:15], a[90:91], a[18:19], v[12:15]// 0000000123B4: D3F3000C 1C32255A
	v_mfma_f32_16x16x32_fp8_fp8 v[12:15], a[92:93], a[20:21], v[12:15]// 0000000123BC: D3F3000C 1C32295C
	v_mfma_f32_16x16x32_fp8_fp8 v[12:15], a[94:95], a[22:23], v[12:15]// 0000000123C4: D3F3000C 1C322D5E
	v_fma_f32 v208, v8, v4, v208                               // 0000000123CC: D1CB00D0 07420908
	v_fma_f32 v209, v9, v4, v209                               // 0000000123D4: D1CB00D1 07460909
	v_fma_f32 v210, v10, v4, v210                              // 0000000123DC: D1CB00D2 074A090A
	v_fma_f32 v211, v11, v4, v211                              // 0000000123E4: D1CB00D3 074E090B
	v_mul_f32_dpp v6, v28, v38 row_newbcast:3 row_mask:0xf bank_mask:0xf// 0000000123EC: 0A0C4CFA FF01531C
	v_mfma_f32_16x16x32_fp8_fp8 v[8:11], a[96:97], a[16:17], 0 // 0000000123F4: D3F30008 1A022160
	s_add_u32 s60, 0x180, s80                                  // 0000000123FC: 803C50FF 00000180
	s_cmp_lt_u32 s60, s81                                      // 000000012404: BF0A513C
	s_cselect_b32 s57, s57, 0                                  // 000000012408: 85398039
	s_cselect_b32 s3, s3, 0                                    // 00000001240C: 85038003
	v_mfma_f32_16x16x32_fp8_fp8 v[8:11], a[98:99], a[18:19], v[8:11]// 000000012410: D3F30008 1C222562
	s_add_u32 s60, 0x100, s80                                  // 000000012418: 803C50FF 00000100
	s_cmp_lt_u32 s60, s81                                      // 000000012420: BF0A513C
	s_cselect_b32 s58, s58, 0                                  // 000000012424: 853A803A
	v_mfma_f32_16x16x32_fp8_fp8 v[8:11], a[100:101], a[20:21], v[8:11]// 000000012428: D3F30008 1C222964
	s_add_u32 s60, 0x100, s80                                  // 000000012430: 803C50FF 00000100
	s_cmp_lt_u32 s60, s81                                      // 000000012438: BF0A513C
	s_cselect_b32 s83, s83, 0                                  // 00000001243C: 85538053
	s_cselect_b32 s4, s4, 0                                    // 000000012440: 85048004
	v_mfma_f32_16x16x32_fp8_fp8 v[8:11], a[102:103], a[22:23], v[8:11]// 000000012444: D3F30008 1C222D66
	s_add_u32 s24, s58, s24                                    // 00000001244C: 8018183A
	s_addc_u32 s25, 0, s25                                     // 000000012450: 82191980
	v_fma_f32 v220, v12, v4, v220                              // 000000012454: D1CB00DC 0772090C
	v_fma_f32 v221, v13, v4, v221                              // 00000001245C: D1CB00DD 0776090D
	v_fma_f32 v222, v14, v4, v222                              // 000000012464: D1CB00DE 077A090E
	v_fma_f32 v223, v15, v4, v223                              // 00000001246C: D1CB00DF 077E090F
	v_mfma_f32_16x16x32_fp8_fp8 v[12:15], a[104:105], a[16:17], 0// 000000012474: D3F3000C 1A022168
	s_add_u32 s20, s57, s20                                    // 00000001247C: 80141439
	s_addc_u32 s21, 0, s21                                     // 000000012480: 82151580
	s_add_u32 s28, s3, s28                                     // 000000012484: 801C1C03
	s_addc_u32 s29, 0, s29                                     // 000000012488: 821D1D80
	v_mfma_f32_16x16x32_fp8_fp8 v[12:15], a[106:107], a[18:19], v[12:15]// 00000001248C: D3F3000C 1C32256A
	s_add_u32 s84, s83, s84                                    // 000000012494: 80545453
	s_addc_u32 s85, 0, s85                                     // 000000012498: 82555580
	v_mfma_f32_16x16x32_fp8_fp8 v[12:15], a[108:109], a[20:21], v[12:15]// 00000001249C: D3F3000C 1C32296C
	s_add_u32 s32, s4, s32                                     // 0000000124A4: 80202004
	s_addc_u32 s33, 0, s33                                     // 0000000124A8: 82212180
	v_mfma_f32_16x16x32_fp8_fp8 v[12:15], a[110:111], a[22:23], v[12:15]// 0000000124AC: D3F3000C 1C322D6E
	v_fma_f32 v232, v8, v6, v232                               // 0000000124B4: D1CB00E8 07A20D08
	v_fma_f32 v233, v9, v6, v233                               // 0000000124BC: D1CB00E9 07A60D09
	v_fma_f32 v234, v10, v6, v234                              // 0000000124C4: D1CB00EA 07AA0D0A
	v_fma_f32 v235, v11, v6, v235                              // 0000000124CC: D1CB00EB 07AE0D0B
	v_fma_f32 v244, v12, v6, v244                              // 0000000124D4: D1CB00F4 07D20D0C
	v_fma_f32 v245, v13, v6, v245                              // 0000000124DC: D1CB00F5 07D60D0D
	v_fma_f32 v246, v14, v6, v246                              // 0000000124E4: D1CB00F6 07DA0D0E
	v_fma_f32 v247, v15, v6, v247                              // 0000000124EC: D1CB00F7 07DE0D0F
	s_addk_i32 s80, 0x80                                       // 0000000124F4: B7500080
	s_cmp_lt_i32 s80, s81                                      // 0000000124F8: BF045150
	s_cbranch_scc0 label_427F                                  // 0000000124FC: BF8403BC
	s_waitcnt vmcnt(26) lgkmcnt(0)                             // 000000012500: BF8C407A
	v_mul_f32_dpp v4, v26, v39 row_newbcast:0 row_mask:0xf bank_mask:0xf// 000000012504: 0A084EFA FF01501A
	v_mfma_f32_16x16x32_fp8_fp8 v[8:11], a[112:113], a[24:25], 0// 00000001250C: D3F30008 1A023170
	buffer_load_dword v24, v22, s[32:35], 0 offen              // 000000012514: E0501000 80081816
	buffer_load_dwordx4 a[48:51], v48, s[24:27], 0 offen       // 00000001251C: E05C1000 80863030
	v_mfma_f32_16x16x32_fp8_fp8 v[8:11], a[114:115], a[26:27], v[8:11]// 000000012524: D3F30008 1C223572
	v_mfma_f32_16x16x32_fp8_fp8 v[8:11], a[116:117], a[28:29], v[8:11]// 00000001252C: D3F30008 1C223974
	v_mfma_f32_16x16x32_fp8_fp8 v[8:11], a[118:119], a[30:31], v[8:11]// 000000012534: D3F30008 1C223D76
	v_mfma_f32_16x16x32_fp8_fp8 v[12:15], a[120:121], a[24:25], 0// 00000001253C: D3F3000C 1A023178
	buffer_load_dwordx4 a[52:55], v48, s[24:27], 0 offen offset:1024// 000000012544: E05C1400 80863430
	v_mfma_f32_16x16x32_fp8_fp8 v[12:15], a[122:123], a[26:27], v[12:15]// 00000001254C: D3F3000C 1C32357A
	v_mfma_f32_16x16x32_fp8_fp8 v[12:15], a[124:125], a[28:29], v[12:15]// 000000012554: D3F3000C 1C32397C
	v_mfma_f32_16x16x32_fp8_fp8 v[12:15], a[126:127], a[30:31], v[12:15]// 00000001255C: D3F3000C 1C323D7E
	v_fma_f32 v56, v8, v4, v56                                 // 000000012564: D1CB0038 04E20908
	v_fma_f32 v57, v9, v4, v57                                 // 00000001256C: D1CB0039 04E60909
	v_fma_f32 v58, v10, v4, v58                                // 000000012574: D1CB003A 04EA090A
	v_fma_f32 v59, v11, v4, v59                                // 00000001257C: D1CB003B 04EE090B
	v_mul_f32_dpp v6, v26, v39 row_newbcast:1 row_mask:0xf bank_mask:0xf// 000000012584: 0A0C4EFA FF01511A
	v_mfma_f32_16x16x32_fp8_fp8 v[8:11], a[128:129], a[24:25], 0// 00000001258C: D3F30008 1A023180
	buffer_load_dwordx4 a[56:59], v49, s[24:27], 0 offen       // 000000012594: E05C1000 80863831
	v_mfma_f32_16x16x32_fp8_fp8 v[8:11], a[130:131], a[26:27], v[8:11]// 00000001259C: D3F30008 1C223582
	v_mfma_f32_16x16x32_fp8_fp8 v[8:11], a[132:133], a[28:29], v[8:11]// 0000000125A4: D3F30008 1C223984
	v_mfma_f32_16x16x32_fp8_fp8 v[8:11], a[134:135], a[30:31], v[8:11]// 0000000125AC: D3F30008 1C223D86
	v_fma_f32 v68, v12, v4, v68                                // 0000000125B4: D1CB0044 0512090C
	v_fma_f32 v69, v13, v4, v69                                // 0000000125BC: D1CB0045 0516090D
	v_fma_f32 v70, v14, v4, v70                                // 0000000125C4: D1CB0046 051A090E
	v_fma_f32 v71, v15, v4, v71                                // 0000000125CC: D1CB0047 051E090F
	v_mfma_f32_16x16x32_fp8_fp8 v[12:15], a[136:137], a[24:25], 0// 0000000125D4: D3F3000C 1A023188
	buffer_load_dwordx4 a[60:63], v49, s[24:27], 0 offen offset:1024// 0000000125DC: E05C1400 80863C31
	v_mfma_f32_16x16x32_fp8_fp8 v[12:15], a[138:139], a[26:27], v[12:15]// 0000000125E4: D3F3000C 1C32358A
	v_mfma_f32_16x16x32_fp8_fp8 v[12:15], a[140:141], a[28:29], v[12:15]// 0000000125EC: D3F3000C 1C32398C
	v_mfma_f32_16x16x32_fp8_fp8 v[12:15], a[142:143], a[30:31], v[12:15]// 0000000125F4: D3F3000C 1C323D8E
	v_fma_f32 v80, v8, v6, v80                                 // 0000000125FC: D1CB0050 05420D08
	v_fma_f32 v81, v9, v6, v81                                 // 000000012604: D1CB0051 05460D09
	v_fma_f32 v82, v10, v6, v82                                // 00000001260C: D1CB0052 054A0D0A
	v_fma_f32 v83, v11, v6, v83                                // 000000012614: D1CB0053 054E0D0B
	v_mul_f32_dpp v4, v26, v39 row_newbcast:2 row_mask:0xf bank_mask:0xf// 00000001261C: 0A084EFA FF01521A
	v_mfma_f32_16x16x32_fp8_fp8 v[8:11], a[144:145], a[24:25], 0// 000000012624: D3F30008 1A023190
	buffer_load_dwordx4 a[64:67], v50, s[24:27], 0 offen       // 00000001262C: E05C1000 80864032
	v_mfma_f32_16x16x32_fp8_fp8 v[8:11], a[146:147], a[26:27], v[8:11]// 000000012634: D3F30008 1C223592
	v_mfma_f32_16x16x32_fp8_fp8 v[8:11], a[148:149], a[28:29], v[8:11]// 00000001263C: D3F30008 1C223994
	v_mfma_f32_16x16x32_fp8_fp8 v[8:11], a[150:151], a[30:31], v[8:11]// 000000012644: D3F30008 1C223D96
	v_fma_f32 v92, v12, v6, v92                                // 00000001264C: D1CB005C 05720D0C
	v_fma_f32 v93, v13, v6, v93                                // 000000012654: D1CB005D 05760D0D
	v_fma_f32 v94, v14, v6, v94                                // 00000001265C: D1CB005E 057A0D0E
	v_fma_f32 v95, v15, v6, v95                                // 000000012664: D1CB005F 057E0D0F
	v_mfma_f32_16x16x32_fp8_fp8 v[12:15], a[152:153], a[24:25], 0// 00000001266C: D3F3000C 1A023198
	buffer_load_dwordx4 a[68:71], v50, s[24:27], 0 offen offset:1024// 000000012674: E05C1400 80864432
	v_mfma_f32_16x16x32_fp8_fp8 v[12:15], a[154:155], a[26:27], v[12:15]// 00000001267C: D3F3000C 1C32359A
	v_mfma_f32_16x16x32_fp8_fp8 v[12:15], a[156:157], a[28:29], v[12:15]// 000000012684: D3F3000C 1C32399C
	v_mfma_f32_16x16x32_fp8_fp8 v[12:15], a[158:159], a[30:31], v[12:15]// 00000001268C: D3F3000C 1C323D9E
	v_fma_f32 v104, v8, v4, v104                               // 000000012694: D1CB0068 05A20908
	v_fma_f32 v105, v9, v4, v105                               // 00000001269C: D1CB0069 05A60909
	v_fma_f32 v106, v10, v4, v106                              // 0000000126A4: D1CB006A 05AA090A
	v_fma_f32 v107, v11, v4, v107                              // 0000000126AC: D1CB006B 05AE090B
	v_mul_f32_dpp v6, v26, v39 row_newbcast:3 row_mask:0xf bank_mask:0xf// 0000000126B4: 0A0C4EFA FF01531A
	v_mfma_f32_16x16x32_fp8_fp8 v[8:11], a[160:161], a[24:25], 0// 0000000126BC: D3F30008 1A0231A0
	buffer_load_dwordx4 a[72:75], v51, s[24:27], 0 offen       // 0000000126C4: E05C1000 80864833
	v_mfma_f32_16x16x32_fp8_fp8 v[8:11], a[162:163], a[26:27], v[8:11]// 0000000126CC: D3F30008 1C2235A2
	v_mfma_f32_16x16x32_fp8_fp8 v[8:11], a[164:165], a[28:29], v[8:11]// 0000000126D4: D3F30008 1C2239A4
	v_mfma_f32_16x16x32_fp8_fp8 v[8:11], a[166:167], a[30:31], v[8:11]// 0000000126DC: D3F30008 1C223DA6
	v_fma_f32 v116, v12, v4, v116                              // 0000000126E4: D1CB0074 05D2090C
	v_fma_f32 v117, v13, v4, v117                              // 0000000126EC: D1CB0075 05D6090D
	v_fma_f32 v118, v14, v4, v118                              // 0000000126F4: D1CB0076 05DA090E
	v_fma_f32 v119, v15, v4, v119                              // 0000000126FC: D1CB0077 05DE090F
	v_mfma_f32_16x16x32_fp8_fp8 v[12:15], a[168:169], a[24:25], 0// 000000012704: D3F3000C 1A0231A8
	buffer_load_dwordx4 a[76:79], v51, s[24:27], 0 offen offset:1024// 00000001270C: E05C1400 80864C33
	v_mfma_f32_16x16x32_fp8_fp8 v[12:15], a[170:171], a[26:27], v[12:15]// 000000012714: D3F3000C 1C3235AA
	v_mfma_f32_16x16x32_fp8_fp8 v[12:15], a[172:173], a[28:29], v[12:15]// 00000001271C: D3F3000C 1C3239AC
	v_mfma_f32_16x16x32_fp8_fp8 v[12:15], a[174:175], a[30:31], v[12:15]// 000000012724: D3F3000C 1C323DAE
	v_fma_f32 v128, v8, v6, v128                               // 00000001272C: D1CB0080 06020D08
	v_fma_f32 v129, v9, v6, v129                               // 000000012734: D1CB0081 06060D09
	v_fma_f32 v130, v10, v6, v130                              // 00000001273C: D1CB0082 060A0D0A
	v_fma_f32 v131, v11, v6, v131                              // 000000012744: D1CB0083 060E0D0B
	v_mul_f32_dpp v4, v26, v40 row_newbcast:0 row_mask:0xf bank_mask:0xf// 00000001274C: 0A0850FA FF01501A
	v_mfma_f32_16x16x32_fp8_fp8 v[8:11], a[112:113], a[32:33], 0// 000000012754: D3F30008 1A024170
	buffer_load_dwordx4 a[80:83], v52, s[24:27], 0 offen       // 00000001275C: E05C1000 80865034
	v_mfma_f32_16x16x32_fp8_fp8 v[8:11], a[114:115], a[34:35], v[8:11]// 000000012764: D3F30008 1C224572
	v_mfma_f32_16x16x32_fp8_fp8 v[8:11], a[116:117], a[36:37], v[8:11]// 00000001276C: D3F30008 1C224974
	v_mfma_f32_16x16x32_fp8_fp8 v[8:11], a[118:119], a[38:39], v[8:11]// 000000012774: D3F30008 1C224D76
	v_fma_f32 v140, v12, v6, v140                              // 00000001277C: D1CB008C 06320D0C
	v_fma_f32 v141, v13, v6, v141                              // 000000012784: D1CB008D 06360D0D
	v_fma_f32 v142, v14, v6, v142                              // 00000001278C: D1CB008E 063A0D0E
	v_fma_f32 v143, v15, v6, v143                              // 000000012794: D1CB008F 063E0D0F
	v_mfma_f32_16x16x32_fp8_fp8 v[12:15], a[120:121], a[32:33], 0// 00000001279C: D3F3000C 1A024178
	buffer_load_dwordx4 a[84:87], v52, s[24:27], 0 offen offset:1024// 0000000127A4: E05C1400 80865434
	v_mfma_f32_16x16x32_fp8_fp8 v[12:15], a[122:123], a[34:35], v[12:15]// 0000000127AC: D3F3000C 1C32457A
	v_mfma_f32_16x16x32_fp8_fp8 v[12:15], a[124:125], a[36:37], v[12:15]// 0000000127B4: D3F3000C 1C32497C
	v_mfma_f32_16x16x32_fp8_fp8 v[12:15], a[126:127], a[38:39], v[12:15]// 0000000127BC: D3F3000C 1C324D7E
	v_fma_f32 v60, v8, v4, v60                                 // 0000000127C4: D1CB003C 04F20908
	v_fma_f32 v61, v9, v4, v61                                 // 0000000127CC: D1CB003D 04F60909
	v_fma_f32 v62, v10, v4, v62                                // 0000000127D4: D1CB003E 04FA090A
	v_fma_f32 v63, v11, v4, v63                                // 0000000127DC: D1CB003F 04FE090B
	v_mul_f32_dpp v6, v26, v40 row_newbcast:1 row_mask:0xf bank_mask:0xf// 0000000127E4: 0A0C50FA FF01511A
	v_mfma_f32_16x16x32_fp8_fp8 v[8:11], a[128:129], a[32:33], 0// 0000000127EC: D3F30008 1A024180
	buffer_load_dwordx4 a[88:91], v53, s[24:27], 0 offen       // 0000000127F4: E05C1000 80865835
	v_mfma_f32_16x16x32_fp8_fp8 v[8:11], a[130:131], a[34:35], v[8:11]// 0000000127FC: D3F30008 1C224582
	v_mfma_f32_16x16x32_fp8_fp8 v[8:11], a[132:133], a[36:37], v[8:11]// 000000012804: D3F30008 1C224984
	v_mfma_f32_16x16x32_fp8_fp8 v[8:11], a[134:135], a[38:39], v[8:11]// 00000001280C: D3F30008 1C224D86
	v_fma_f32 v72, v12, v4, v72                                // 000000012814: D1CB0048 0522090C
	v_fma_f32 v73, v13, v4, v73                                // 00000001281C: D1CB0049 0526090D
	v_fma_f32 v74, v14, v4, v74                                // 000000012824: D1CB004A 052A090E
	v_fma_f32 v75, v15, v4, v75                                // 00000001282C: D1CB004B 052E090F
	v_mfma_f32_16x16x32_fp8_fp8 v[12:15], a[136:137], a[32:33], 0// 000000012834: D3F3000C 1A024188
	buffer_load_dwordx4 a[92:95], v53, s[24:27], 0 offen offset:1024// 00000001283C: E05C1400 80865C35
	v_mfma_f32_16x16x32_fp8_fp8 v[12:15], a[138:139], a[34:35], v[12:15]// 000000012844: D3F3000C 1C32458A
	v_mfma_f32_16x16x32_fp8_fp8 v[12:15], a[140:141], a[36:37], v[12:15]// 00000001284C: D3F3000C 1C32498C
	v_mfma_f32_16x16x32_fp8_fp8 v[12:15], a[142:143], a[38:39], v[12:15]// 000000012854: D3F3000C 1C324D8E
	v_fma_f32 v84, v8, v6, v84                                 // 00000001285C: D1CB0054 05520D08
	v_fma_f32 v85, v9, v6, v85                                 // 000000012864: D1CB0055 05560D09
	v_fma_f32 v86, v10, v6, v86                                // 00000001286C: D1CB0056 055A0D0A
	v_fma_f32 v87, v11, v6, v87                                // 000000012874: D1CB0057 055E0D0B
	v_mul_f32_dpp v4, v26, v40 row_newbcast:2 row_mask:0xf bank_mask:0xf// 00000001287C: 0A0850FA FF01521A
	v_mfma_f32_16x16x32_fp8_fp8 v[8:11], a[144:145], a[32:33], 0// 000000012884: D3F30008 1A024190
	buffer_load_dwordx4 a[96:99], v54, s[24:27], 0 offen       // 00000001288C: E05C1000 80866036
	v_mfma_f32_16x16x32_fp8_fp8 v[8:11], a[146:147], a[34:35], v[8:11]// 000000012894: D3F30008 1C224592
	v_mfma_f32_16x16x32_fp8_fp8 v[8:11], a[148:149], a[36:37], v[8:11]// 00000001289C: D3F30008 1C224994
	v_mfma_f32_16x16x32_fp8_fp8 v[8:11], a[150:151], a[38:39], v[8:11]// 0000000128A4: D3F30008 1C224D96
	v_fma_f32 v96, v12, v6, v96                                // 0000000128AC: D1CB0060 05820D0C
	v_fma_f32 v97, v13, v6, v97                                // 0000000128B4: D1CB0061 05860D0D
	v_fma_f32 v98, v14, v6, v98                                // 0000000128BC: D1CB0062 058A0D0E
	v_fma_f32 v99, v15, v6, v99                                // 0000000128C4: D1CB0063 058E0D0F
	v_mfma_f32_16x16x32_fp8_fp8 v[12:15], a[152:153], a[32:33], 0// 0000000128CC: D3F3000C 1A024198
	buffer_load_dwordx4 a[100:103], v54, s[24:27], 0 offen offset:1024// 0000000128D4: E05C1400 80866436
	v_mfma_f32_16x16x32_fp8_fp8 v[12:15], a[154:155], a[34:35], v[12:15]// 0000000128DC: D3F3000C 1C32459A
	v_mfma_f32_16x16x32_fp8_fp8 v[12:15], a[156:157], a[36:37], v[12:15]// 0000000128E4: D3F3000C 1C32499C
	v_mfma_f32_16x16x32_fp8_fp8 v[12:15], a[158:159], a[38:39], v[12:15]// 0000000128EC: D3F3000C 1C324D9E
	v_fma_f32 v108, v8, v4, v108                               // 0000000128F4: D1CB006C 05B20908
	v_fma_f32 v109, v9, v4, v109                               // 0000000128FC: D1CB006D 05B60909
	v_fma_f32 v110, v10, v4, v110                              // 000000012904: D1CB006E 05BA090A
	v_fma_f32 v111, v11, v4, v111                              // 00000001290C: D1CB006F 05BE090B
	v_mul_f32_dpp v6, v26, v40 row_newbcast:3 row_mask:0xf bank_mask:0xf// 000000012914: 0A0C50FA FF01531A
	v_mfma_f32_16x16x32_fp8_fp8 v[8:11], a[160:161], a[32:33], 0// 00000001291C: D3F30008 1A0241A0
	buffer_load_dwordx4 a[104:107], v55, s[24:27], 0 offen     // 000000012924: E05C1000 80866837
	v_mfma_f32_16x16x32_fp8_fp8 v[8:11], a[162:163], a[34:35], v[8:11]// 00000001292C: D3F30008 1C2245A2
	v_mfma_f32_16x16x32_fp8_fp8 v[8:11], a[164:165], a[36:37], v[8:11]// 000000012934: D3F30008 1C2249A4
	v_mfma_f32_16x16x32_fp8_fp8 v[8:11], a[166:167], a[38:39], v[8:11]// 00000001293C: D3F30008 1C224DA6
	v_fma_f32 v120, v12, v4, v120                              // 000000012944: D1CB0078 05E2090C
	v_fma_f32 v121, v13, v4, v121                              // 00000001294C: D1CB0079 05E6090D
	v_fma_f32 v122, v14, v4, v122                              // 000000012954: D1CB007A 05EA090E
	v_fma_f32 v123, v15, v4, v123                              // 00000001295C: D1CB007B 05EE090F
	v_mfma_f32_16x16x32_fp8_fp8 v[12:15], a[168:169], a[32:33], 0// 000000012964: D3F3000C 1A0241A8
	buffer_load_dwordx4 a[108:111], v55, s[24:27], 0 offen offset:1024// 00000001296C: E05C1400 80866C37
	buffer_load_dword v42, s[20:23], 0 offen lds               // 000000012974: E0511000 8005002A
	s_add_u32 m0, 0x100, s49                                   // 00000001297C: 807C31FF 00000100
	v_mfma_f32_16x16x32_fp8_fp8 v[12:15], a[170:171], a[34:35], v[12:15]// 000000012984: D3F3000C 1C3245AA
	v_mfma_f32_16x16x32_fp8_fp8 v[12:15], a[172:173], a[36:37], v[12:15]// 00000001298C: D3F3000C 1C3249AC
	buffer_load_dword v43, s[20:23], 0 offen lds               // 000000012994: E0511000 8005002B
	s_add_u32 m0, 0x200, s49                                   // 00000001299C: 807C31FF 00000200
	v_mfma_f32_16x16x32_fp8_fp8 v[12:15], a[174:175], a[38:39], v[12:15]// 0000000129A4: D3F3000C 1C324DAE
	v_fma_f32 v132, v8, v6, v132                               // 0000000129AC: D1CB0084 06120D08
	v_fma_f32 v133, v9, v6, v133                               // 0000000129B4: D1CB0085 06160D09
	v_fma_f32 v134, v10, v6, v134                              // 0000000129BC: D1CB0086 061A0D0A
	v_fma_f32 v135, v11, v6, v135                              // 0000000129C4: D1CB0087 061E0D0B
	v_mul_f32_dpp v4, v26, v41 row_newbcast:0 row_mask:0xf bank_mask:0xf// 0000000129CC: 0A0852FA FF01501A
	v_mfma_f32_16x16x32_fp8_fp8 v[8:11], a[112:113], a[40:41], 0// 0000000129D4: D3F30008 1A025170
	buffer_load_dword v44, s[20:23], 0 offen lds               // 0000000129DC: E0511000 8005002C
	s_add_u32 m0, 0x300, s49                                   // 0000000129E4: 807C31FF 00000300
	v_mfma_f32_16x16x32_fp8_fp8 v[8:11], a[114:115], a[42:43], v[8:11]// 0000000129EC: D3F30008 1C225572
	v_mfma_f32_16x16x32_fp8_fp8 v[8:11], a[116:117], a[44:45], v[8:11]// 0000000129F4: D3F30008 1C225974
	buffer_load_dword v45, s[20:23], 0 offen lds               // 0000000129FC: E0511000 8005002D
	s_add_u32 m0, 0x400, s49                                   // 000000012A04: 807C31FF 00000400
	v_mfma_f32_16x16x32_fp8_fp8 v[8:11], a[118:119], a[46:47], v[8:11]// 000000012A0C: D3F30008 1C225D76
	v_fma_f32 v144, v12, v6, v144                              // 000000012A14: D1CB0090 06420D0C
	v_fma_f32 v145, v13, v6, v145                              // 000000012A1C: D1CB0091 06460D0D
	v_fma_f32 v146, v14, v6, v146                              // 000000012A24: D1CB0092 064A0D0E
	v_fma_f32 v147, v15, v6, v147                              // 000000012A2C: D1CB0093 064E0D0F
	v_mfma_f32_16x16x32_fp8_fp8 v[12:15], a[120:121], a[40:41], 0// 000000012A34: D3F3000C 1A025178
	buffer_load_dword v46, s[20:23], 0 offen lds               // 000000012A3C: E0511000 8005002E
	s_add_u32 m0, 0x500, s49                                   // 000000012A44: 807C31FF 00000500
	v_mfma_f32_16x16x32_fp8_fp8 v[12:15], a[122:123], a[42:43], v[12:15]// 000000012A4C: D3F3000C 1C32557A
	v_mfma_f32_16x16x32_fp8_fp8 v[12:15], a[124:125], a[44:45], v[12:15]// 000000012A54: D3F3000C 1C32597C
	buffer_load_dword v47, s[20:23], 0 offen lds               // 000000012A5C: E0511000 8005002F
	s_add_u32 m0, 0, s50                                       // 000000012A64: 807C3280
	v_mfma_f32_16x16x32_fp8_fp8 v[12:15], a[126:127], a[46:47], v[12:15]// 000000012A68: D3F3000C 1C325D7E
	v_fma_f32 v64, v8, v4, v64                                 // 000000012A70: D1CB0040 05020908
	v_fma_f32 v65, v9, v4, v65                                 // 000000012A78: D1CB0041 05060909
	v_fma_f32 v66, v10, v4, v66                                // 000000012A80: D1CB0042 050A090A
	v_fma_f32 v67, v11, v4, v67                                // 000000012A88: D1CB0043 050E090B
	v_mul_f32_dpp v6, v26, v41 row_newbcast:1 row_mask:0xf bank_mask:0xf// 000000012A90: 0A0C52FA FF01511A
	v_mfma_f32_16x16x32_fp8_fp8 v[8:11], a[128:129], a[40:41], 0// 000000012A98: D3F30008 1A025180
	buffer_load_dword v36, v30, s[28:31], 0 offen              // 000000012AA0: E0501000 8007241E
	v_mfma_f32_16x16x32_fp8_fp8 v[8:11], a[130:131], a[42:43], v[8:11]// 000000012AA8: D3F30008 1C225582
	v_mfma_f32_16x16x32_fp8_fp8 v[8:11], a[132:133], a[44:45], v[8:11]// 000000012AB0: D3F30008 1C225984
	buffer_load_dword v37, v31, s[28:31], 0 offen              // 000000012AB8: E0501000 8007251F
	v_mfma_f32_16x16x32_fp8_fp8 v[8:11], a[134:135], a[46:47], v[8:11]// 000000012AC0: D3F30008 1C225D86
	v_fma_f32 v76, v12, v4, v76                                // 000000012AC8: D1CB004C 0532090C
	v_fma_f32 v77, v13, v4, v77                                // 000000012AD0: D1CB004D 0536090D
	v_fma_f32 v78, v14, v4, v78                                // 000000012AD8: D1CB004E 053A090E
	v_fma_f32 v79, v15, v4, v79                                // 000000012AE0: D1CB004F 053E090F
	v_mfma_f32_16x16x32_fp8_fp8 v[12:15], a[136:137], a[40:41], 0// 000000012AE8: D3F3000C 1A025188
	buffer_load_dword v38, v32, s[28:31], 0 offen              // 000000012AF0: E0501000 80072620
	v_mfma_f32_16x16x32_fp8_fp8 v[12:15], a[138:139], a[42:43], v[12:15]// 000000012AF8: D3F3000C 1C32558A
	v_mfma_f32_16x16x32_fp8_fp8 v[12:15], a[140:141], a[44:45], v[12:15]// 000000012B00: D3F3000C 1C32598C
	v_mfma_f32_16x16x32_fp8_fp8 v[12:15], a[142:143], a[46:47], v[12:15]// 000000012B08: D3F3000C 1C325D8E
	v_fma_f32 v88, v8, v6, v88                                 // 000000012B10: D1CB0058 05620D08
	v_fma_f32 v89, v9, v6, v89                                 // 000000012B18: D1CB0059 05660D09
	v_fma_f32 v90, v10, v6, v90                                // 000000012B20: D1CB005A 056A0D0A
	v_fma_f32 v91, v11, v6, v91                                // 000000012B28: D1CB005B 056E0D0B
	v_mul_f32_dpp v4, v26, v41 row_newbcast:2 row_mask:0xf bank_mask:0xf// 000000012B30: 0A0852FA FF01521A
	v_mfma_f32_16x16x32_fp8_fp8 v[8:11], a[144:145], a[40:41], 0// 000000012B38: D3F30008 1A025190
	v_mfma_f32_16x16x32_fp8_fp8 v[8:11], a[146:147], a[42:43], v[8:11]// 000000012B40: D3F30008 1C225592
	v_mfma_f32_16x16x32_fp8_fp8 v[8:11], a[148:149], a[44:45], v[8:11]// 000000012B48: D3F30008 1C225994
	v_mfma_f32_16x16x32_fp8_fp8 v[8:11], a[150:151], a[46:47], v[8:11]// 000000012B50: D3F30008 1C225D96
	v_fma_f32 v100, v12, v6, v100                              // 000000012B58: D1CB0064 05920D0C
	v_fma_f32 v101, v13, v6, v101                              // 000000012B60: D1CB0065 05960D0D
	v_fma_f32 v102, v14, v6, v102                              // 000000012B68: D1CB0066 059A0D0E
	v_fma_f32 v103, v15, v6, v103                              // 000000012B70: D1CB0067 059E0D0F
	v_mfma_f32_16x16x32_fp8_fp8 v[12:15], a[152:153], a[40:41], 0// 000000012B78: D3F3000C 1A025198
	v_mfma_f32_16x16x32_fp8_fp8 v[12:15], a[154:155], a[42:43], v[12:15]// 000000012B80: D3F3000C 1C32559A
	v_mfma_f32_16x16x32_fp8_fp8 v[12:15], a[156:157], a[44:45], v[12:15]// 000000012B88: D3F3000C 1C32599C
	v_mfma_f32_16x16x32_fp8_fp8 v[12:15], a[158:159], a[46:47], v[12:15]// 000000012B90: D3F3000C 1C325D9E
	v_fma_f32 v112, v8, v4, v112                               // 000000012B98: D1CB0070 05C20908
	v_fma_f32 v113, v9, v4, v113                               // 000000012BA0: D1CB0071 05C60909
	v_fma_f32 v114, v10, v4, v114                              // 000000012BA8: D1CB0072 05CA090A
	v_fma_f32 v115, v11, v4, v115                              // 000000012BB0: D1CB0073 05CE090B
	v_mul_f32_dpp v6, v26, v41 row_newbcast:3 row_mask:0xf bank_mask:0xf// 000000012BB8: 0A0C52FA FF01531A
	v_mfma_f32_16x16x32_fp8_fp8 v[8:11], a[160:161], a[40:41], 0// 000000012BC0: D3F30008 1A0251A0
	v_mfma_f32_16x16x32_fp8_fp8 v[8:11], a[162:163], a[42:43], v[8:11]// 000000012BC8: D3F30008 1C2255A2
	v_mfma_f32_16x16x32_fp8_fp8 v[8:11], a[164:165], a[44:45], v[8:11]// 000000012BD0: D3F30008 1C2259A4
	v_mfma_f32_16x16x32_fp8_fp8 v[8:11], a[166:167], a[46:47], v[8:11]// 000000012BD8: D3F30008 1C225DA6
	v_fma_f32 v124, v12, v4, v124                              // 000000012BE0: D1CB007C 05F2090C
	v_fma_f32 v125, v13, v4, v125                              // 000000012BE8: D1CB007D 05F6090D
	v_fma_f32 v126, v14, v4, v126                              // 000000012BF0: D1CB007E 05FA090E
	v_fma_f32 v127, v15, v4, v127                              // 000000012BF8: D1CB007F 05FE090F
	v_mfma_f32_16x16x32_fp8_fp8 v[12:15], a[168:169], a[40:41], 0// 000000012C00: D3F3000C 1A0251A8
	v_mfma_f32_16x16x32_fp8_fp8 v[12:15], a[170:171], a[42:43], v[12:15]// 000000012C08: D3F3000C 1C3255AA
	v_mfma_f32_16x16x32_fp8_fp8 v[12:15], a[172:173], a[44:45], v[12:15]// 000000012C10: D3F3000C 1C3259AC
	v_mfma_f32_16x16x32_fp8_fp8 v[12:15], a[174:175], a[46:47], v[12:15]// 000000012C18: D3F3000C 1C325DAE
	v_fma_f32 v136, v8, v6, v136                               // 000000012C20: D1CB0088 06220D08
	v_fma_f32 v137, v9, v6, v137                               // 000000012C28: D1CB0089 06260D09
	v_fma_f32 v138, v10, v6, v138                              // 000000012C30: D1CB008A 062A0D0A
	v_fma_f32 v139, v11, v6, v139                              // 000000012C38: D1CB008B 062E0D0B
	v_fma_f32 v148, v12, v6, v148                              // 000000012C40: D1CB0094 06520D0C
	v_fma_f32 v149, v13, v6, v149                              // 000000012C48: D1CB0095 06560D0D
	v_fma_f32 v150, v14, v6, v150                              // 000000012C50: D1CB0096 065A0D0E
	v_fma_f32 v151, v15, v6, v151                              // 000000012C58: D1CB0097 065E0D0F
	s_waitcnt vmcnt(26)                                        // 000000012C60: BF8C4F7A
	s_barrier                                                  // 000000012C64: BF8A0000
	v_mul_f32_dpp v4, v29, v39 row_newbcast:0 row_mask:0xf bank_mask:0xf// 000000012C68: 0A084EFA FF01501D
	v_mfma_f32_16x16x32_fp8_fp8 v[8:11], a[176:177], a[24:25], 0// 000000012C70: D3F30008 1A0231B0
	buffer_load_dword v27, v23, s[32:35], 0 offen              // 000000012C78: E0501000 80081B17
	buffer_load_dwordx4 a[112:115], v48, s[84:87], 0 offen     // 000000012C80: E05C1000 80957030
	v_mfma_f32_16x16x32_fp8_fp8 v[8:11], a[178:179], a[26:27], v[8:11]// 000000012C88: D3F30008 1C2235B2
	v_mfma_f32_16x16x32_fp8_fp8 v[8:11], a[180:181], a[28:29], v[8:11]// 000000012C90: D3F30008 1C2239B4
	ds_read_b128 a[0:3], v2                                    // 000000012C98: DBFE0000 00000002
	ds_read_b128 a[4:7], v2 offset:64                          // 000000012CA0: DBFE0040 04000002
	v_mfma_f32_16x16x32_fp8_fp8 v[8:11], a[182:183], a[30:31], v[8:11]// 000000012CA8: D3F30008 1C223DB6
	v_mfma_f32_16x16x32_fp8_fp8 v[12:15], a[184:185], a[24:25], 0// 000000012CB0: D3F3000C 1A0231B8
	buffer_load_dwordx4 a[116:119], v48, s[84:87], 0 offen offset:1024// 000000012CB8: E05C1400 80957430
	v_mfma_f32_16x16x32_fp8_fp8 v[12:15], a[186:187], a[26:27], v[12:15]// 000000012CC0: D3F3000C 1C3235BA
	v_mfma_f32_16x16x32_fp8_fp8 v[12:15], a[188:189], a[28:29], v[12:15]// 000000012CC8: D3F3000C 1C3239BC
	ds_read_b128 a[8:11], v2 offset:512                        // 000000012CD0: DBFE0200 08000002
	ds_read_b128 a[12:15], v2 offset:576                       // 000000012CD8: DBFE0240 0C000002
	v_mfma_f32_16x16x32_fp8_fp8 v[12:15], a[190:191], a[30:31], v[12:15]// 000000012CE0: D3F3000C 1C323DBE
	v_fma_f32 v152, v8, v4, v152                               // 000000012CE8: D1CB0098 06620908
	v_fma_f32 v153, v9, v4, v153                               // 000000012CF0: D1CB0099 06660909
	v_fma_f32 v154, v10, v4, v154                              // 000000012CF8: D1CB009A 066A090A
	v_fma_f32 v155, v11, v4, v155                              // 000000012D00: D1CB009B 066E090B
	v_mul_f32_dpp v6, v29, v39 row_newbcast:1 row_mask:0xf bank_mask:0xf// 000000012D08: 0A0C4EFA FF01511D
	v_mfma_f32_16x16x32_fp8_fp8 v[8:11], a[192:193], a[24:25], 0// 000000012D10: D3F30008 1A0231C0
	buffer_load_dwordx4 a[120:123], v49, s[84:87], 0 offen     // 000000012D18: E05C1000 80957831
	v_mfma_f32_16x16x32_fp8_fp8 v[8:11], a[194:195], a[26:27], v[8:11]// 000000012D20: D3F30008 1C2235C2
	v_mfma_f32_16x16x32_fp8_fp8 v[8:11], a[196:197], a[28:29], v[8:11]// 000000012D28: D3F30008 1C2239C4
	ds_read_b128 a[16:19], v2 offset:1024                      // 000000012D30: DBFE0400 10000002
	ds_read_b128 a[20:23], v2 offset:1088                      // 000000012D38: DBFE0440 14000002
	v_mfma_f32_16x16x32_fp8_fp8 v[8:11], a[198:199], a[30:31], v[8:11]// 000000012D40: D3F30008 1C223DC6
	v_fma_f32 v164, v12, v4, v164                              // 000000012D48: D1CB00A4 0692090C
	v_fma_f32 v165, v13, v4, v165                              // 000000012D50: D1CB00A5 0696090D
	v_fma_f32 v166, v14, v4, v166                              // 000000012D58: D1CB00A6 069A090E
	v_fma_f32 v167, v15, v4, v167                              // 000000012D60: D1CB00A7 069E090F
	v_mfma_f32_16x16x32_fp8_fp8 v[12:15], a[200:201], a[24:25], 0// 000000012D68: D3F3000C 1A0231C8
	buffer_load_dwordx4 a[124:127], v49, s[84:87], 0 offen offset:1024// 000000012D70: E05C1400 80957C31
	v_mfma_f32_16x16x32_fp8_fp8 v[12:15], a[202:203], a[26:27], v[12:15]// 000000012D78: D3F3000C 1C3235CA
	v_mfma_f32_16x16x32_fp8_fp8 v[12:15], a[204:205], a[28:29], v[12:15]// 000000012D80: D3F3000C 1C3239CC
	v_mfma_f32_16x16x32_fp8_fp8 v[12:15], a[206:207], a[30:31], v[12:15]// 000000012D88: D3F3000C 1C323DCE
	v_fma_f32 v176, v8, v6, v176                               // 000000012D90: D1CB00B0 06C20D08
	v_fma_f32 v177, v9, v6, v177                               // 000000012D98: D1CB00B1 06C60D09
	v_fma_f32 v178, v10, v6, v178                              // 000000012DA0: D1CB00B2 06CA0D0A
	v_fma_f32 v179, v11, v6, v179                              // 000000012DA8: D1CB00B3 06CE0D0B
	v_mul_f32_dpp v4, v29, v39 row_newbcast:2 row_mask:0xf bank_mask:0xf// 000000012DB0: 0A084EFA FF01521D
	v_mfma_f32_16x16x32_fp8_fp8 v[8:11], a[208:209], a[24:25], 0// 000000012DB8: D3F30008 1A0231D0
	buffer_load_dwordx4 a[128:131], v50, s[84:87], 0 offen     // 000000012DC0: E05C1000 80958032
	v_mfma_f32_16x16x32_fp8_fp8 v[8:11], a[210:211], a[26:27], v[8:11]// 000000012DC8: D3F30008 1C2235D2
	v_mfma_f32_16x16x32_fp8_fp8 v[8:11], a[212:213], a[28:29], v[8:11]// 000000012DD0: D3F30008 1C2239D4
	v_mfma_f32_16x16x32_fp8_fp8 v[8:11], a[214:215], a[30:31], v[8:11]// 000000012DD8: D3F30008 1C223DD6
	v_fma_f32 v188, v12, v6, v188                              // 000000012DE0: D1CB00BC 06F20D0C
	v_fma_f32 v189, v13, v6, v189                              // 000000012DE8: D1CB00BD 06F60D0D
	v_fma_f32 v190, v14, v6, v190                              // 000000012DF0: D1CB00BE 06FA0D0E
	v_fma_f32 v191, v15, v6, v191                              // 000000012DF8: D1CB00BF 06FE0D0F
	v_mfma_f32_16x16x32_fp8_fp8 v[12:15], a[216:217], a[24:25], 0// 000000012E00: D3F3000C 1A0231D8
	buffer_load_dwordx4 a[132:135], v50, s[84:87], 0 offen offset:1024// 000000012E08: E05C1400 80958432
	v_mfma_f32_16x16x32_fp8_fp8 v[12:15], a[218:219], a[26:27], v[12:15]// 000000012E10: D3F3000C 1C3235DA
	v_mfma_f32_16x16x32_fp8_fp8 v[12:15], a[220:221], a[28:29], v[12:15]// 000000012E18: D3F3000C 1C3239DC
	v_mfma_f32_16x16x32_fp8_fp8 v[12:15], a[222:223], a[30:31], v[12:15]// 000000012E20: D3F3000C 1C323DDE
	v_fma_f32 v200, v8, v4, v200                               // 000000012E28: D1CB00C8 07220908
	v_fma_f32 v201, v9, v4, v201                               // 000000012E30: D1CB00C9 07260909
	v_fma_f32 v202, v10, v4, v202                              // 000000012E38: D1CB00CA 072A090A
	v_fma_f32 v203, v11, v4, v203                              // 000000012E40: D1CB00CB 072E090B
	v_mul_f32_dpp v6, v29, v39 row_newbcast:3 row_mask:0xf bank_mask:0xf// 000000012E48: 0A0C4EFA FF01531D
	v_mfma_f32_16x16x32_fp8_fp8 v[8:11], a[224:225], a[24:25], 0// 000000012E50: D3F30008 1A0231E0
	buffer_load_dwordx4 a[136:139], v51, s[84:87], 0 offen     // 000000012E58: E05C1000 80958833
	v_mfma_f32_16x16x32_fp8_fp8 v[8:11], a[226:227], a[26:27], v[8:11]// 000000012E60: D3F30008 1C2235E2
	v_mfma_f32_16x16x32_fp8_fp8 v[8:11], a[228:229], a[28:29], v[8:11]// 000000012E68: D3F30008 1C2239E4
	v_mfma_f32_16x16x32_fp8_fp8 v[8:11], a[230:231], a[30:31], v[8:11]// 000000012E70: D3F30008 1C223DE6
	v_fma_f32 v212, v12, v4, v212                              // 000000012E78: D1CB00D4 0752090C
	v_fma_f32 v213, v13, v4, v213                              // 000000012E80: D1CB00D5 0756090D
	v_fma_f32 v214, v14, v4, v214                              // 000000012E88: D1CB00D6 075A090E
	v_fma_f32 v215, v15, v4, v215                              // 000000012E90: D1CB00D7 075E090F
	v_mfma_f32_16x16x32_fp8_fp8 v[12:15], a[232:233], a[24:25], 0// 000000012E98: D3F3000C 1A0231E8
	buffer_load_dwordx4 a[140:143], v51, s[84:87], 0 offen offset:1024// 000000012EA0: E05C1400 80958C33
	v_mfma_f32_16x16x32_fp8_fp8 v[12:15], a[234:235], a[26:27], v[12:15]// 000000012EA8: D3F3000C 1C3235EA
	v_mfma_f32_16x16x32_fp8_fp8 v[12:15], a[236:237], a[28:29], v[12:15]// 000000012EB0: D3F3000C 1C3239EC
	v_mfma_f32_16x16x32_fp8_fp8 v[12:15], a[238:239], a[30:31], v[12:15]// 000000012EB8: D3F3000C 1C323DEE
	v_fma_f32 v224, v8, v6, v224                               // 000000012EC0: D1CB00E0 07820D08
	v_fma_f32 v225, v9, v6, v225                               // 000000012EC8: D1CB00E1 07860D09
	v_fma_f32 v226, v10, v6, v226                              // 000000012ED0: D1CB00E2 078A0D0A
	v_fma_f32 v227, v11, v6, v227                              // 000000012ED8: D1CB00E3 078E0D0B
	v_mul_f32_dpp v4, v29, v40 row_newbcast:0 row_mask:0xf bank_mask:0xf// 000000012EE0: 0A0850FA FF01501D
	v_mfma_f32_16x16x32_fp8_fp8 v[8:11], a[176:177], a[32:33], 0// 000000012EE8: D3F30008 1A0241B0
	buffer_load_dwordx4 a[144:147], v52, s[84:87], 0 offen     // 000000012EF0: E05C1000 80959034
	v_mfma_f32_16x16x32_fp8_fp8 v[8:11], a[178:179], a[34:35], v[8:11]// 000000012EF8: D3F30008 1C2245B2
	v_mfma_f32_16x16x32_fp8_fp8 v[8:11], a[180:181], a[36:37], v[8:11]// 000000012F00: D3F30008 1C2249B4
	v_mfma_f32_16x16x32_fp8_fp8 v[8:11], a[182:183], a[38:39], v[8:11]// 000000012F08: D3F30008 1C224DB6
	v_fma_f32 v236, v12, v6, v236                              // 000000012F10: D1CB00EC 07B20D0C
	v_fma_f32 v237, v13, v6, v237                              // 000000012F18: D1CB00ED 07B60D0D
	v_fma_f32 v238, v14, v6, v238                              // 000000012F20: D1CB00EE 07BA0D0E
	v_fma_f32 v239, v15, v6, v239                              // 000000012F28: D1CB00EF 07BE0D0F
	v_mfma_f32_16x16x32_fp8_fp8 v[12:15], a[184:185], a[32:33], 0// 000000012F30: D3F3000C 1A0241B8
	buffer_load_dwordx4 a[148:151], v52, s[84:87], 0 offen offset:1024// 000000012F38: E05C1400 80959434
	v_mfma_f32_16x16x32_fp8_fp8 v[12:15], a[186:187], a[34:35], v[12:15]// 000000012F40: D3F3000C 1C3245BA
	v_mfma_f32_16x16x32_fp8_fp8 v[12:15], a[188:189], a[36:37], v[12:15]// 000000012F48: D3F3000C 1C3249BC
	v_mfma_f32_16x16x32_fp8_fp8 v[12:15], a[190:191], a[38:39], v[12:15]// 000000012F50: D3F3000C 1C324DBE
	v_fma_f32 v156, v8, v4, v156                               // 000000012F58: D1CB009C 06720908
	v_fma_f32 v157, v9, v4, v157                               // 000000012F60: D1CB009D 06760909
	v_fma_f32 v158, v10, v4, v158                              // 000000012F68: D1CB009E 067A090A
	v_fma_f32 v159, v11, v4, v159                              // 000000012F70: D1CB009F 067E090B
	v_mul_f32_dpp v6, v29, v40 row_newbcast:1 row_mask:0xf bank_mask:0xf// 000000012F78: 0A0C50FA FF01511D
	v_mfma_f32_16x16x32_fp8_fp8 v[8:11], a[192:193], a[32:33], 0// 000000012F80: D3F30008 1A0241C0
	buffer_load_dwordx4 a[152:155], v53, s[84:87], 0 offen     // 000000012F88: E05C1000 80959835
	v_mfma_f32_16x16x32_fp8_fp8 v[8:11], a[194:195], a[34:35], v[8:11]// 000000012F90: D3F30008 1C2245C2
	v_mfma_f32_16x16x32_fp8_fp8 v[8:11], a[196:197], a[36:37], v[8:11]// 000000012F98: D3F30008 1C2249C4
	v_mfma_f32_16x16x32_fp8_fp8 v[8:11], a[198:199], a[38:39], v[8:11]// 000000012FA0: D3F30008 1C224DC6
	v_fma_f32 v168, v12, v4, v168                              // 000000012FA8: D1CB00A8 06A2090C
	v_fma_f32 v169, v13, v4, v169                              // 000000012FB0: D1CB00A9 06A6090D
	v_fma_f32 v170, v14, v4, v170                              // 000000012FB8: D1CB00AA 06AA090E
	v_fma_f32 v171, v15, v4, v171                              // 000000012FC0: D1CB00AB 06AE090F
	v_mfma_f32_16x16x32_fp8_fp8 v[12:15], a[200:201], a[32:33], 0// 000000012FC8: D3F3000C 1A0241C8
	buffer_load_dwordx4 a[156:159], v53, s[84:87], 0 offen offset:1024// 000000012FD0: E05C1400 80959C35
	v_mfma_f32_16x16x32_fp8_fp8 v[12:15], a[202:203], a[34:35], v[12:15]// 000000012FD8: D3F3000C 1C3245CA
	v_mfma_f32_16x16x32_fp8_fp8 v[12:15], a[204:205], a[36:37], v[12:15]// 000000012FE0: D3F3000C 1C3249CC
	v_mfma_f32_16x16x32_fp8_fp8 v[12:15], a[206:207], a[38:39], v[12:15]// 000000012FE8: D3F3000C 1C324DCE
	v_fma_f32 v180, v8, v6, v180                               // 000000012FF0: D1CB00B4 06D20D08
	v_fma_f32 v181, v9, v6, v181                               // 000000012FF8: D1CB00B5 06D60D09
	v_fma_f32 v182, v10, v6, v182                              // 000000013000: D1CB00B6 06DA0D0A
	v_fma_f32 v183, v11, v6, v183                              // 000000013008: D1CB00B7 06DE0D0B
	v_mul_f32_dpp v4, v29, v40 row_newbcast:2 row_mask:0xf bank_mask:0xf// 000000013010: 0A0850FA FF01521D
	v_mfma_f32_16x16x32_fp8_fp8 v[8:11], a[208:209], a[32:33], 0// 000000013018: D3F30008 1A0241D0
	buffer_load_dwordx4 a[160:163], v54, s[84:87], 0 offen     // 000000013020: E05C1000 8095A036
	v_mfma_f32_16x16x32_fp8_fp8 v[8:11], a[210:211], a[34:35], v[8:11]// 000000013028: D3F30008 1C2245D2
	v_mfma_f32_16x16x32_fp8_fp8 v[8:11], a[212:213], a[36:37], v[8:11]// 000000013030: D3F30008 1C2249D4
	v_mfma_f32_16x16x32_fp8_fp8 v[8:11], a[214:215], a[38:39], v[8:11]// 000000013038: D3F30008 1C224DD6
	v_fma_f32 v192, v12, v6, v192                              // 000000013040: D1CB00C0 07020D0C
	v_fma_f32 v193, v13, v6, v193                              // 000000013048: D1CB00C1 07060D0D
	v_fma_f32 v194, v14, v6, v194                              // 000000013050: D1CB00C2 070A0D0E
	v_fma_f32 v195, v15, v6, v195                              // 000000013058: D1CB00C3 070E0D0F
	v_mfma_f32_16x16x32_fp8_fp8 v[12:15], a[216:217], a[32:33], 0// 000000013060: D3F3000C 1A0241D8
	buffer_load_dwordx4 a[164:167], v54, s[84:87], 0 offen offset:1024// 000000013068: E05C1400 8095A436
	v_mfma_f32_16x16x32_fp8_fp8 v[12:15], a[218:219], a[34:35], v[12:15]// 000000013070: D3F3000C 1C3245DA
	v_mfma_f32_16x16x32_fp8_fp8 v[12:15], a[220:221], a[36:37], v[12:15]// 000000013078: D3F3000C 1C3249DC
	v_mfma_f32_16x16x32_fp8_fp8 v[12:15], a[222:223], a[38:39], v[12:15]// 000000013080: D3F3000C 1C324DDE
	v_fma_f32 v204, v8, v4, v204                               // 000000013088: D1CB00CC 07320908
	v_fma_f32 v205, v9, v4, v205                               // 000000013090: D1CB00CD 07360909
	v_fma_f32 v206, v10, v4, v206                              // 000000013098: D1CB00CE 073A090A
	v_fma_f32 v207, v11, v4, v207                              // 0000000130A0: D1CB00CF 073E090B
	v_mul_f32_dpp v6, v29, v40 row_newbcast:3 row_mask:0xf bank_mask:0xf// 0000000130A8: 0A0C50FA FF01531D
	v_mfma_f32_16x16x32_fp8_fp8 v[8:11], a[224:225], a[32:33], 0// 0000000130B0: D3F30008 1A0241E0
	buffer_load_dwordx4 a[168:171], v55, s[84:87], 0 offen     // 0000000130B8: E05C1000 8095A837
	v_mfma_f32_16x16x32_fp8_fp8 v[8:11], a[226:227], a[34:35], v[8:11]// 0000000130C0: D3F30008 1C2245E2
	v_mfma_f32_16x16x32_fp8_fp8 v[8:11], a[228:229], a[36:37], v[8:11]// 0000000130C8: D3F30008 1C2249E4
	v_mfma_f32_16x16x32_fp8_fp8 v[8:11], a[230:231], a[38:39], v[8:11]// 0000000130D0: D3F30008 1C224DE6
	v_fma_f32 v216, v12, v4, v216                              // 0000000130D8: D1CB00D8 0762090C
	v_fma_f32 v217, v13, v4, v217                              // 0000000130E0: D1CB00D9 0766090D
	v_fma_f32 v218, v14, v4, v218                              // 0000000130E8: D1CB00DA 076A090E
	v_fma_f32 v219, v15, v4, v219                              // 0000000130F0: D1CB00DB 076E090F
	v_mfma_f32_16x16x32_fp8_fp8 v[12:15], a[232:233], a[32:33], 0// 0000000130F8: D3F3000C 1A0241E8
	buffer_load_dwordx4 a[172:175], v55, s[84:87], 0 offen offset:1024// 000000013100: E05C1400 8095AC37
	v_mfma_f32_16x16x32_fp8_fp8 v[12:15], a[234:235], a[34:35], v[12:15]// 000000013108: D3F3000C 1C3245EA
	v_mfma_f32_16x16x32_fp8_fp8 v[12:15], a[236:237], a[36:37], v[12:15]// 000000013110: D3F3000C 1C3249EC
	v_mfma_f32_16x16x32_fp8_fp8 v[12:15], a[238:239], a[38:39], v[12:15]// 000000013118: D3F3000C 1C324DEE
	v_fma_f32 v228, v8, v6, v228                               // 000000013120: D1CB00E4 07920D08
	v_fma_f32 v229, v9, v6, v229                               // 000000013128: D1CB00E5 07960D09
	v_fma_f32 v230, v10, v6, v230                              // 000000013130: D1CB00E6 079A0D0A
	v_fma_f32 v231, v11, v6, v231                              // 000000013138: D1CB00E7 079E0D0B
	v_mul_f32_dpp v4, v29, v41 row_newbcast:0 row_mask:0xf bank_mask:0xf// 000000013140: 0A0852FA FF01501D
	v_mfma_f32_16x16x32_fp8_fp8 v[8:11], a[176:177], a[40:41], 0// 000000013148: D3F30008 1A0251B0
	v_mfma_f32_16x16x32_fp8_fp8 v[8:11], a[178:179], a[42:43], v[8:11]// 000000013150: D3F30008 1C2255B2
	v_mfma_f32_16x16x32_fp8_fp8 v[8:11], a[180:181], a[44:45], v[8:11]// 000000013158: D3F30008 1C2259B4
	v_mfma_f32_16x16x32_fp8_fp8 v[8:11], a[182:183], a[46:47], v[8:11]// 000000013160: D3F30008 1C225DB6
	v_fma_f32 v240, v12, v6, v240                              // 000000013168: D1CB00F0 07C20D0C
	v_fma_f32 v241, v13, v6, v241                              // 000000013170: D1CB00F1 07C60D0D
	v_fma_f32 v242, v14, v6, v242                              // 000000013178: D1CB00F2 07CA0D0E
	v_fma_f32 v243, v15, v6, v243                              // 000000013180: D1CB00F3 07CE0D0F
	v_mfma_f32_16x16x32_fp8_fp8 v[12:15], a[184:185], a[40:41], 0// 000000013188: D3F3000C 1A0251B8
	v_mfma_f32_16x16x32_fp8_fp8 v[12:15], a[186:187], a[42:43], v[12:15]// 000000013190: D3F3000C 1C3255BA
	v_mfma_f32_16x16x32_fp8_fp8 v[12:15], a[188:189], a[44:45], v[12:15]// 000000013198: D3F3000C 1C3259BC
	v_mfma_f32_16x16x32_fp8_fp8 v[12:15], a[190:191], a[46:47], v[12:15]// 0000000131A0: D3F3000C 1C325DBE
	v_fma_f32 v160, v8, v4, v160                               // 0000000131A8: D1CB00A0 06820908
	v_fma_f32 v161, v9, v4, v161                               // 0000000131B0: D1CB00A1 06860909
	v_fma_f32 v162, v10, v4, v162                              // 0000000131B8: D1CB00A2 068A090A
	v_fma_f32 v163, v11, v4, v163                              // 0000000131C0: D1CB00A3 068E090B
	v_mul_f32_dpp v6, v29, v41 row_newbcast:1 row_mask:0xf bank_mask:0xf// 0000000131C8: 0A0C52FA FF01511D
	v_mfma_f32_16x16x32_fp8_fp8 v[8:11], a[192:193], a[40:41], 0// 0000000131D0: D3F30008 1A0251C0
	v_mfma_f32_16x16x32_fp8_fp8 v[8:11], a[194:195], a[42:43], v[8:11]// 0000000131D8: D3F30008 1C2255C2
	v_mfma_f32_16x16x32_fp8_fp8 v[8:11], a[196:197], a[44:45], v[8:11]// 0000000131E0: D3F30008 1C2259C4
	v_mfma_f32_16x16x32_fp8_fp8 v[8:11], a[198:199], a[46:47], v[8:11]// 0000000131E8: D3F30008 1C225DC6
	v_fma_f32 v172, v12, v4, v172                              // 0000000131F0: D1CB00AC 06B2090C
	v_fma_f32 v173, v13, v4, v173                              // 0000000131F8: D1CB00AD 06B6090D
	v_fma_f32 v174, v14, v4, v174                              // 000000013200: D1CB00AE 06BA090E
	v_fma_f32 v175, v15, v4, v175                              // 000000013208: D1CB00AF 06BE090F
	v_mfma_f32_16x16x32_fp8_fp8 v[12:15], a[200:201], a[40:41], 0// 000000013210: D3F3000C 1A0251C8
	v_mfma_f32_16x16x32_fp8_fp8 v[12:15], a[202:203], a[42:43], v[12:15]// 000000013218: D3F3000C 1C3255CA
	v_mfma_f32_16x16x32_fp8_fp8 v[12:15], a[204:205], a[44:45], v[12:15]// 000000013220: D3F3000C 1C3259CC
	v_mfma_f32_16x16x32_fp8_fp8 v[12:15], a[206:207], a[46:47], v[12:15]// 000000013228: D3F3000C 1C325DCE
	v_fma_f32 v184, v8, v6, v184                               // 000000013230: D1CB00B8 06E20D08
	v_fma_f32 v185, v9, v6, v185                               // 000000013238: D1CB00B9 06E60D09
	v_fma_f32 v186, v10, v6, v186                              // 000000013240: D1CB00BA 06EA0D0A
	v_fma_f32 v187, v11, v6, v187                              // 000000013248: D1CB00BB 06EE0D0B
	v_mul_f32_dpp v4, v29, v41 row_newbcast:2 row_mask:0xf bank_mask:0xf// 000000013250: 0A0852FA FF01521D
	v_mfma_f32_16x16x32_fp8_fp8 v[8:11], a[208:209], a[40:41], 0// 000000013258: D3F30008 1A0251D0
	v_mfma_f32_16x16x32_fp8_fp8 v[8:11], a[210:211], a[42:43], v[8:11]// 000000013260: D3F30008 1C2255D2
	v_mfma_f32_16x16x32_fp8_fp8 v[8:11], a[212:213], a[44:45], v[8:11]// 000000013268: D3F30008 1C2259D4
	v_mfma_f32_16x16x32_fp8_fp8 v[8:11], a[214:215], a[46:47], v[8:11]// 000000013270: D3F30008 1C225DD6
	v_fma_f32 v196, v12, v6, v196                              // 000000013278: D1CB00C4 07120D0C
	v_fma_f32 v197, v13, v6, v197                              // 000000013280: D1CB00C5 07160D0D
	v_fma_f32 v198, v14, v6, v198                              // 000000013288: D1CB00C6 071A0D0E
	v_fma_f32 v199, v15, v6, v199                              // 000000013290: D1CB00C7 071E0D0F
	v_mfma_f32_16x16x32_fp8_fp8 v[12:15], a[216:217], a[40:41], 0// 000000013298: D3F3000C 1A0251D8
	v_mfma_f32_16x16x32_fp8_fp8 v[12:15], a[218:219], a[42:43], v[12:15]// 0000000132A0: D3F3000C 1C3255DA
	v_mfma_f32_16x16x32_fp8_fp8 v[12:15], a[220:221], a[44:45], v[12:15]// 0000000132A8: D3F3000C 1C3259DC
	v_mfma_f32_16x16x32_fp8_fp8 v[12:15], a[222:223], a[46:47], v[12:15]// 0000000132B0: D3F3000C 1C325DDE
	v_fma_f32 v208, v8, v4, v208                               // 0000000132B8: D1CB00D0 07420908
	v_fma_f32 v209, v9, v4, v209                               // 0000000132C0: D1CB00D1 07460909
	v_fma_f32 v210, v10, v4, v210                              // 0000000132C8: D1CB00D2 074A090A
	v_fma_f32 v211, v11, v4, v211                              // 0000000132D0: D1CB00D3 074E090B
	v_mul_f32_dpp v6, v29, v41 row_newbcast:3 row_mask:0xf bank_mask:0xf// 0000000132D8: 0A0C52FA FF01531D
	v_mfma_f32_16x16x32_fp8_fp8 v[8:11], a[224:225], a[40:41], 0// 0000000132E0: D3F30008 1A0251E0
	s_add_u32 s60, 0x180, s80                                  // 0000000132E8: 803C50FF 00000180
	s_cmp_lt_u32 s60, s81                                      // 0000000132F0: BF0A513C
	s_cselect_b32 s57, s57, 0                                  // 0000000132F4: 85398039
	s_cselect_b32 s3, s3, 0                                    // 0000000132F8: 85038003
	v_mfma_f32_16x16x32_fp8_fp8 v[8:11], a[226:227], a[42:43], v[8:11]// 0000000132FC: D3F30008 1C2255E2
	s_add_u32 s60, 0x100, s80                                  // 000000013304: 803C50FF 00000100
	s_cmp_lt_u32 s60, s81                                      // 00000001330C: BF0A513C
	s_cselect_b32 s58, s58, 0                                  // 000000013310: 853A803A
	v_mfma_f32_16x16x32_fp8_fp8 v[8:11], a[228:229], a[44:45], v[8:11]// 000000013314: D3F30008 1C2259E4
	s_add_u32 s60, 0x100, s80                                  // 00000001331C: 803C50FF 00000100
	s_cmp_lt_u32 s60, s81                                      // 000000013324: BF0A513C
	s_cselect_b32 s83, s83, 0                                  // 000000013328: 85538053
	s_cselect_b32 s4, s4, 0                                    // 00000001332C: 85048004
	v_mfma_f32_16x16x32_fp8_fp8 v[8:11], a[230:231], a[46:47], v[8:11]// 000000013330: D3F30008 1C225DE6
	s_add_u32 s24, s58, s24                                    // 000000013338: 8018183A
	s_addc_u32 s25, 0, s25                                     // 00000001333C: 82191980
	v_fma_f32 v220, v12, v4, v220                              // 000000013340: D1CB00DC 0772090C
	v_fma_f32 v221, v13, v4, v221                              // 000000013348: D1CB00DD 0776090D
	v_fma_f32 v222, v14, v4, v222                              // 000000013350: D1CB00DE 077A090E
	v_fma_f32 v223, v15, v4, v223                              // 000000013358: D1CB00DF 077E090F
	v_mfma_f32_16x16x32_fp8_fp8 v[12:15], a[232:233], a[40:41], 0// 000000013360: D3F3000C 1A0251E8
	s_add_u32 s20, s57, s20                                    // 000000013368: 80141439
	s_addc_u32 s21, 0, s21                                     // 00000001336C: 82151580
	s_add_u32 s28, s3, s28                                     // 000000013370: 801C1C03
	s_addc_u32 s29, 0, s29                                     // 000000013374: 821D1D80
	v_mfma_f32_16x16x32_fp8_fp8 v[12:15], a[234:235], a[42:43], v[12:15]// 000000013378: D3F3000C 1C3255EA
	s_add_u32 s84, s83, s84                                    // 000000013380: 80545453
	s_addc_u32 s85, 0, s85                                     // 000000013384: 82555580
	v_mfma_f32_16x16x32_fp8_fp8 v[12:15], a[236:237], a[44:45], v[12:15]// 000000013388: D3F3000C 1C3259EC
	s_add_u32 s32, s4, s32                                     // 000000013390: 80202004
	s_addc_u32 s33, 0, s33                                     // 000000013394: 82212180
	v_mfma_f32_16x16x32_fp8_fp8 v[12:15], a[238:239], a[46:47], v[12:15]// 000000013398: D3F3000C 1C325DEE
	v_fma_f32 v232, v8, v6, v232                               // 0000000133A0: D1CB00E8 07A20D08
	v_fma_f32 v233, v9, v6, v233                               // 0000000133A8: D1CB00E9 07A60D09
	v_fma_f32 v234, v10, v6, v234                              // 0000000133B0: D1CB00EA 07AA0D0A
	v_fma_f32 v235, v11, v6, v235                              // 0000000133B8: D1CB00EB 07AE0D0B
	v_fma_f32 v244, v12, v6, v244                              // 0000000133C0: D1CB00F4 07D20D0C
	v_fma_f32 v245, v13, v6, v245                              // 0000000133C8: D1CB00F5 07D60D0D
	v_fma_f32 v246, v14, v6, v246                              // 0000000133D0: D1CB00F6 07DA0D0E
	v_fma_f32 v247, v15, v6, v247                              // 0000000133D8: D1CB00F7 07DE0D0F
	s_addk_i32 s80, 0x80                                       // 0000000133E0: B7500080
	s_cmp_lt_i32 s80, s81                                      // 0000000133E4: BF045150
	s_cbranch_scc0 label_427F                                  // 0000000133E8: BF840001
	s_branch label_2C1C                                        // 0000000133EC: BF82E99D

00000000000133f0 <label_427F>:
	s_cmp_eq_u32 s88, 0                                        // 0000000133F0: BF068058
	s_cbranch_scc0 label_4F50                                  // 0000000133F4: BF840CCF
	s_cmp_eq_u32 s89, 0                                        // 0000000133F8: BF068059
	s_cbranch_scc1 label_4648                                  // 0000000133FC: BF8503C5
	v_mov_b32_e32 v8, v1                                       // 000000013400: 7E100301
	v_mov_b32_e32 v9, v1                                       // 000000013404: 7E120301
	s_mov_b32 s60, s6                                          // 000000013408: BEBC0006
	s_mov_b32 s61, s6                                          // 00000001340C: BEBD0006
	v_pk_mul_f32 v[4:5], v[56:57], v[56:57]                    // 000000013410: D3B14004 18027138
	v_pk_mul_f32 v[6:7], v[58:59], v[58:59]                    // 000000013418: D3B14006 1802753A
	v_pk_fma_f32 v[4:5], v[4:5], s[78:79], v[8:9]              // 000000013420: D3B04004 1C209D04
	v_pk_fma_f32 v[6:7], v[6:7], s[78:79], v[8:9]              // 000000013428: D3B04006 1C209D06
	v_pk_mul_f32 v[4:5], v[4:5], v[56:57]                      // 000000013430: D3B14004 18027104
	v_pk_mul_f32 v[6:7], v[6:7], v[58:59]                      // 000000013438: D3B14006 18027506
	v_pk_mul_f32 v[4:5], v[4:5], s[60:61]                      // 000000013440: D3B14004 18007904
	v_pk_mul_f32 v[6:7], v[6:7], s[60:61]                      // 000000013448: D3B14006 18007906
	v_exp_f32_e32 v4, v4                                       // 000000013450: 7E084104
	v_exp_f32_e32 v5, v5                                       // 000000013454: 7E0A4105
	v_exp_f32_e32 v6, v6                                       // 000000013458: 7E0C4106
	v_exp_f32_e32 v7, v7                                       // 00000001345C: 7E0E4107
	v_add_f32_e64 v4, v4, 1.0                                  // 000000013460: D1010004 0001E504
	v_add_f32_e64 v5, v5, 1.0                                  // 000000013468: D1010005 0001E505
	v_add_f32_e64 v6, v6, 1.0                                  // 000000013470: D1010006 0001E506
	v_add_f32_e64 v7, v7, 1.0                                  // 000000013478: D1010007 0001E507
	v_rcp_f32_e32 v4, v4                                       // 000000013480: 7E084504
	v_rcp_f32_e32 v5, v5                                       // 000000013484: 7E0A4505
	v_rcp_f32_e32 v6, v6                                       // 000000013488: 7E0C4506
	v_rcp_f32_e32 v7, v7                                       // 00000001348C: 7E0E4507
	v_mul_f32_e32 v56, v56, v4                                 // 000000013490: 0A700938
	v_mul_f32_e32 v57, v57, v5                                 // 000000013494: 0A720B39
	v_mul_f32_e32 v58, v58, v6                                 // 000000013498: 0A740D3A
	v_mul_f32_e32 v59, v59, v7                                 // 00000001349C: 0A760F3B
	v_mul_f32_e32 v56, v56, v152                               // 0000000134A0: 0A713138
	v_mul_f32_e32 v57, v57, v153                               // 0000000134A4: 0A733339
	v_mul_f32_e32 v58, v58, v154                               // 0000000134A8: 0A75353A
	v_mul_f32_e32 v59, v59, v155                               // 0000000134AC: 0A77373B
	v_pk_mul_f32 v[4:5], v[60:61], v[60:61]                    // 0000000134B0: D3B14004 1802793C
	v_pk_mul_f32 v[6:7], v[62:63], v[62:63]                    // 0000000134B8: D3B14006 18027D3E
	v_pk_fma_f32 v[4:5], v[4:5], s[78:79], v[8:9]              // 0000000134C0: D3B04004 1C209D04
	v_pk_fma_f32 v[6:7], v[6:7], s[78:79], v[8:9]              // 0000000134C8: D3B04006 1C209D06
	v_pk_mul_f32 v[4:5], v[4:5], v[60:61]                      // 0000000134D0: D3B14004 18027904
	v_pk_mul_f32 v[6:7], v[6:7], v[62:63]                      // 0000000134D8: D3B14006 18027D06
	v_pk_mul_f32 v[4:5], v[4:5], s[60:61]                      // 0000000134E0: D3B14004 18007904
	v_pk_mul_f32 v[6:7], v[6:7], s[60:61]                      // 0000000134E8: D3B14006 18007906
	v_exp_f32_e32 v4, v4                                       // 0000000134F0: 7E084104
	v_exp_f32_e32 v5, v5                                       // 0000000134F4: 7E0A4105
	v_exp_f32_e32 v6, v6                                       // 0000000134F8: 7E0C4106
	v_exp_f32_e32 v7, v7                                       // 0000000134FC: 7E0E4107
	v_add_f32_e64 v4, v4, 1.0                                  // 000000013500: D1010004 0001E504
	v_add_f32_e64 v5, v5, 1.0                                  // 000000013508: D1010005 0001E505
	v_add_f32_e64 v6, v6, 1.0                                  // 000000013510: D1010006 0001E506
	v_add_f32_e64 v7, v7, 1.0                                  // 000000013518: D1010007 0001E507
	v_rcp_f32_e32 v4, v4                                       // 000000013520: 7E084504
	v_rcp_f32_e32 v5, v5                                       // 000000013524: 7E0A4505
	v_rcp_f32_e32 v6, v6                                       // 000000013528: 7E0C4506
	v_rcp_f32_e32 v7, v7                                       // 00000001352C: 7E0E4507
	v_mul_f32_e32 v60, v60, v4                                 // 000000013530: 0A78093C
	v_mul_f32_e32 v61, v61, v5                                 // 000000013534: 0A7A0B3D
	v_mul_f32_e32 v62, v62, v6                                 // 000000013538: 0A7C0D3E
	v_mul_f32_e32 v63, v63, v7                                 // 00000001353C: 0A7E0F3F
	v_mul_f32_e32 v60, v60, v156                               // 000000013540: 0A79393C
	v_mul_f32_e32 v61, v61, v157                               // 000000013544: 0A7B3B3D
	v_mul_f32_e32 v62, v62, v158                               // 000000013548: 0A7D3D3E
	v_mul_f32_e32 v63, v63, v159                               // 00000001354C: 0A7F3F3F
	v_pk_mul_f32 v[4:5], v[64:65], v[64:65]                    // 000000013550: D3B14004 18028140
	v_pk_mul_f32 v[6:7], v[66:67], v[66:67]                    // 000000013558: D3B14006 18028542
	v_pk_fma_f32 v[4:5], v[4:5], s[78:79], v[8:9]              // 000000013560: D3B04004 1C209D04
	v_pk_fma_f32 v[6:7], v[6:7], s[78:79], v[8:9]              // 000000013568: D3B04006 1C209D06
	v_pk_mul_f32 v[4:5], v[4:5], v[64:65]                      // 000000013570: D3B14004 18028104
	v_pk_mul_f32 v[6:7], v[6:7], v[66:67]                      // 000000013578: D3B14006 18028506
	v_pk_mul_f32 v[4:5], v[4:5], s[60:61]                      // 000000013580: D3B14004 18007904
	v_pk_mul_f32 v[6:7], v[6:7], s[60:61]                      // 000000013588: D3B14006 18007906
	v_exp_f32_e32 v4, v4                                       // 000000013590: 7E084104
	v_exp_f32_e32 v5, v5                                       // 000000013594: 7E0A4105
	v_exp_f32_e32 v6, v6                                       // 000000013598: 7E0C4106
	v_exp_f32_e32 v7, v7                                       // 00000001359C: 7E0E4107
	v_add_f32_e64 v4, v4, 1.0                                  // 0000000135A0: D1010004 0001E504
	v_add_f32_e64 v5, v5, 1.0                                  // 0000000135A8: D1010005 0001E505
	v_add_f32_e64 v6, v6, 1.0                                  // 0000000135B0: D1010006 0001E506
	v_add_f32_e64 v7, v7, 1.0                                  // 0000000135B8: D1010007 0001E507
	v_rcp_f32_e32 v4, v4                                       // 0000000135C0: 7E084504
	v_rcp_f32_e32 v5, v5                                       // 0000000135C4: 7E0A4505
	v_rcp_f32_e32 v6, v6                                       // 0000000135C8: 7E0C4506
	v_rcp_f32_e32 v7, v7                                       // 0000000135CC: 7E0E4507
	v_mul_f32_e32 v64, v64, v4                                 // 0000000135D0: 0A800940
	v_mul_f32_e32 v65, v65, v5                                 // 0000000135D4: 0A820B41
	v_mul_f32_e32 v66, v66, v6                                 // 0000000135D8: 0A840D42
	v_mul_f32_e32 v67, v67, v7                                 // 0000000135DC: 0A860F43
	v_mul_f32_e32 v64, v64, v160                               // 0000000135E0: 0A814140
	v_mul_f32_e32 v65, v65, v161                               // 0000000135E4: 0A834341
	v_mul_f32_e32 v66, v66, v162                               // 0000000135E8: 0A854542
	v_mul_f32_e32 v67, v67, v163                               // 0000000135EC: 0A874743
	v_pk_mul_f32 v[4:5], v[68:69], v[68:69]                    // 0000000135F0: D3B14004 18028944
	v_pk_mul_f32 v[6:7], v[70:71], v[70:71]                    // 0000000135F8: D3B14006 18028D46
	v_pk_fma_f32 v[4:5], v[4:5], s[78:79], v[8:9]              // 000000013600: D3B04004 1C209D04
	v_pk_fma_f32 v[6:7], v[6:7], s[78:79], v[8:9]              // 000000013608: D3B04006 1C209D06
	v_pk_mul_f32 v[4:5], v[4:5], v[68:69]                      // 000000013610: D3B14004 18028904
	v_pk_mul_f32 v[6:7], v[6:7], v[70:71]                      // 000000013618: D3B14006 18028D06
	v_pk_mul_f32 v[4:5], v[4:5], s[60:61]                      // 000000013620: D3B14004 18007904
	v_pk_mul_f32 v[6:7], v[6:7], s[60:61]                      // 000000013628: D3B14006 18007906
	v_exp_f32_e32 v4, v4                                       // 000000013630: 7E084104
	v_exp_f32_e32 v5, v5                                       // 000000013634: 7E0A4105
	v_exp_f32_e32 v6, v6                                       // 000000013638: 7E0C4106
	v_exp_f32_e32 v7, v7                                       // 00000001363C: 7E0E4107
	v_add_f32_e64 v4, v4, 1.0                                  // 000000013640: D1010004 0001E504
	v_add_f32_e64 v5, v5, 1.0                                  // 000000013648: D1010005 0001E505
	v_add_f32_e64 v6, v6, 1.0                                  // 000000013650: D1010006 0001E506
	v_add_f32_e64 v7, v7, 1.0                                  // 000000013658: D1010007 0001E507
	v_rcp_f32_e32 v4, v4                                       // 000000013660: 7E084504
	v_rcp_f32_e32 v5, v5                                       // 000000013664: 7E0A4505
	v_rcp_f32_e32 v6, v6                                       // 000000013668: 7E0C4506
	v_rcp_f32_e32 v7, v7                                       // 00000001366C: 7E0E4507
	v_mul_f32_e32 v68, v68, v4                                 // 000000013670: 0A880944
	v_mul_f32_e32 v69, v69, v5                                 // 000000013674: 0A8A0B45
	v_mul_f32_e32 v70, v70, v6                                 // 000000013678: 0A8C0D46
	v_mul_f32_e32 v71, v71, v7                                 // 00000001367C: 0A8E0F47
	v_mul_f32_e32 v68, v68, v164                               // 000000013680: 0A894944
	v_mul_f32_e32 v69, v69, v165                               // 000000013684: 0A8B4B45
	v_mul_f32_e32 v70, v70, v166                               // 000000013688: 0A8D4D46
	v_mul_f32_e32 v71, v71, v167                               // 00000001368C: 0A8F4F47
	v_pk_mul_f32 v[4:5], v[72:73], v[72:73]                    // 000000013690: D3B14004 18029148
	v_pk_mul_f32 v[6:7], v[74:75], v[74:75]                    // 000000013698: D3B14006 1802954A
	v_pk_fma_f32 v[4:5], v[4:5], s[78:79], v[8:9]              // 0000000136A0: D3B04004 1C209D04
	v_pk_fma_f32 v[6:7], v[6:7], s[78:79], v[8:9]              // 0000000136A8: D3B04006 1C209D06
	v_pk_mul_f32 v[4:5], v[4:5], v[72:73]                      // 0000000136B0: D3B14004 18029104
	v_pk_mul_f32 v[6:7], v[6:7], v[74:75]                      // 0000000136B8: D3B14006 18029506
	v_pk_mul_f32 v[4:5], v[4:5], s[60:61]                      // 0000000136C0: D3B14004 18007904
	v_pk_mul_f32 v[6:7], v[6:7], s[60:61]                      // 0000000136C8: D3B14006 18007906
	v_exp_f32_e32 v4, v4                                       // 0000000136D0: 7E084104
	v_exp_f32_e32 v5, v5                                       // 0000000136D4: 7E0A4105
	v_exp_f32_e32 v6, v6                                       // 0000000136D8: 7E0C4106
	v_exp_f32_e32 v7, v7                                       // 0000000136DC: 7E0E4107
	v_add_f32_e64 v4, v4, 1.0                                  // 0000000136E0: D1010004 0001E504
	v_add_f32_e64 v5, v5, 1.0                                  // 0000000136E8: D1010005 0001E505
	v_add_f32_e64 v6, v6, 1.0                                  // 0000000136F0: D1010006 0001E506
	v_add_f32_e64 v7, v7, 1.0                                  // 0000000136F8: D1010007 0001E507
	v_rcp_f32_e32 v4, v4                                       // 000000013700: 7E084504
	v_rcp_f32_e32 v5, v5                                       // 000000013704: 7E0A4505
	v_rcp_f32_e32 v6, v6                                       // 000000013708: 7E0C4506
	v_rcp_f32_e32 v7, v7                                       // 00000001370C: 7E0E4507
	v_mul_f32_e32 v72, v72, v4                                 // 000000013710: 0A900948
	v_mul_f32_e32 v73, v73, v5                                 // 000000013714: 0A920B49
	v_mul_f32_e32 v74, v74, v6                                 // 000000013718: 0A940D4A
	v_mul_f32_e32 v75, v75, v7                                 // 00000001371C: 0A960F4B
	v_mul_f32_e32 v72, v72, v168                               // 000000013720: 0A915148
	v_mul_f32_e32 v73, v73, v169                               // 000000013724: 0A935349
	v_mul_f32_e32 v74, v74, v170                               // 000000013728: 0A95554A
	v_mul_f32_e32 v75, v75, v171                               // 00000001372C: 0A97574B
	v_pk_mul_f32 v[4:5], v[76:77], v[76:77]                    // 000000013730: D3B14004 1802994C
	v_pk_mul_f32 v[6:7], v[78:79], v[78:79]                    // 000000013738: D3B14006 18029D4E
	v_pk_fma_f32 v[4:5], v[4:5], s[78:79], v[8:9]              // 000000013740: D3B04004 1C209D04
	v_pk_fma_f32 v[6:7], v[6:7], s[78:79], v[8:9]              // 000000013748: D3B04006 1C209D06
	v_pk_mul_f32 v[4:5], v[4:5], v[76:77]                      // 000000013750: D3B14004 18029904
	v_pk_mul_f32 v[6:7], v[6:7], v[78:79]                      // 000000013758: D3B14006 18029D06
	v_pk_mul_f32 v[4:5], v[4:5], s[60:61]                      // 000000013760: D3B14004 18007904
	v_pk_mul_f32 v[6:7], v[6:7], s[60:61]                      // 000000013768: D3B14006 18007906
	v_exp_f32_e32 v4, v4                                       // 000000013770: 7E084104
	v_exp_f32_e32 v5, v5                                       // 000000013774: 7E0A4105
	v_exp_f32_e32 v6, v6                                       // 000000013778: 7E0C4106
	v_exp_f32_e32 v7, v7                                       // 00000001377C: 7E0E4107
	v_add_f32_e64 v4, v4, 1.0                                  // 000000013780: D1010004 0001E504
	v_add_f32_e64 v5, v5, 1.0                                  // 000000013788: D1010005 0001E505
	v_add_f32_e64 v6, v6, 1.0                                  // 000000013790: D1010006 0001E506
	v_add_f32_e64 v7, v7, 1.0                                  // 000000013798: D1010007 0001E507
	v_rcp_f32_e32 v4, v4                                       // 0000000137A0: 7E084504
	v_rcp_f32_e32 v5, v5                                       // 0000000137A4: 7E0A4505
	v_rcp_f32_e32 v6, v6                                       // 0000000137A8: 7E0C4506
	v_rcp_f32_e32 v7, v7                                       // 0000000137AC: 7E0E4507
	v_mul_f32_e32 v76, v76, v4                                 // 0000000137B0: 0A98094C
	v_mul_f32_e32 v77, v77, v5                                 // 0000000137B4: 0A9A0B4D
	v_mul_f32_e32 v78, v78, v6                                 // 0000000137B8: 0A9C0D4E
	v_mul_f32_e32 v79, v79, v7                                 // 0000000137BC: 0A9E0F4F
	v_mul_f32_e32 v76, v76, v172                               // 0000000137C0: 0A99594C
	v_mul_f32_e32 v77, v77, v173                               // 0000000137C4: 0A9B5B4D
	v_mul_f32_e32 v78, v78, v174                               // 0000000137C8: 0A9D5D4E
	v_mul_f32_e32 v79, v79, v175                               // 0000000137CC: 0A9F5F4F
	v_pk_mul_f32 v[4:5], v[80:81], v[80:81]                    // 0000000137D0: D3B14004 1802A150
	v_pk_mul_f32 v[6:7], v[82:83], v[82:83]                    // 0000000137D8: D3B14006 1802A552
	v_pk_fma_f32 v[4:5], v[4:5], s[78:79], v[8:9]              // 0000000137E0: D3B04004 1C209D04
	v_pk_fma_f32 v[6:7], v[6:7], s[78:79], v[8:9]              // 0000000137E8: D3B04006 1C209D06
	v_pk_mul_f32 v[4:5], v[4:5], v[80:81]                      // 0000000137F0: D3B14004 1802A104
	v_pk_mul_f32 v[6:7], v[6:7], v[82:83]                      // 0000000137F8: D3B14006 1802A506
	v_pk_mul_f32 v[4:5], v[4:5], s[60:61]                      // 000000013800: D3B14004 18007904
	v_pk_mul_f32 v[6:7], v[6:7], s[60:61]                      // 000000013808: D3B14006 18007906
	v_exp_f32_e32 v4, v4                                       // 000000013810: 7E084104
	v_exp_f32_e32 v5, v5                                       // 000000013814: 7E0A4105
	v_exp_f32_e32 v6, v6                                       // 000000013818: 7E0C4106
	v_exp_f32_e32 v7, v7                                       // 00000001381C: 7E0E4107
	v_add_f32_e64 v4, v4, 1.0                                  // 000000013820: D1010004 0001E504
	v_add_f32_e64 v5, v5, 1.0                                  // 000000013828: D1010005 0001E505
	v_add_f32_e64 v6, v6, 1.0                                  // 000000013830: D1010006 0001E506
	v_add_f32_e64 v7, v7, 1.0                                  // 000000013838: D1010007 0001E507
	v_rcp_f32_e32 v4, v4                                       // 000000013840: 7E084504
	v_rcp_f32_e32 v5, v5                                       // 000000013844: 7E0A4505
	v_rcp_f32_e32 v6, v6                                       // 000000013848: 7E0C4506
	v_rcp_f32_e32 v7, v7                                       // 00000001384C: 7E0E4507
	v_mul_f32_e32 v80, v80, v4                                 // 000000013850: 0AA00950
	v_mul_f32_e32 v81, v81, v5                                 // 000000013854: 0AA20B51
	v_mul_f32_e32 v82, v82, v6                                 // 000000013858: 0AA40D52
	v_mul_f32_e32 v83, v83, v7                                 // 00000001385C: 0AA60F53
	v_mul_f32_e32 v80, v80, v176                               // 000000013860: 0AA16150
	v_mul_f32_e32 v81, v81, v177                               // 000000013864: 0AA36351
	v_mul_f32_e32 v82, v82, v178                               // 000000013868: 0AA56552
	v_mul_f32_e32 v83, v83, v179                               // 00000001386C: 0AA76753
	v_pk_mul_f32 v[4:5], v[84:85], v[84:85]                    // 000000013870: D3B14004 1802A954
	v_pk_mul_f32 v[6:7], v[86:87], v[86:87]                    // 000000013878: D3B14006 1802AD56
	v_pk_fma_f32 v[4:5], v[4:5], s[78:79], v[8:9]              // 000000013880: D3B04004 1C209D04
	v_pk_fma_f32 v[6:7], v[6:7], s[78:79], v[8:9]              // 000000013888: D3B04006 1C209D06
	v_pk_mul_f32 v[4:5], v[4:5], v[84:85]                      // 000000013890: D3B14004 1802A904
	v_pk_mul_f32 v[6:7], v[6:7], v[86:87]                      // 000000013898: D3B14006 1802AD06
	v_pk_mul_f32 v[4:5], v[4:5], s[60:61]                      // 0000000138A0: D3B14004 18007904
	v_pk_mul_f32 v[6:7], v[6:7], s[60:61]                      // 0000000138A8: D3B14006 18007906
	v_exp_f32_e32 v4, v4                                       // 0000000138B0: 7E084104
	v_exp_f32_e32 v5, v5                                       // 0000000138B4: 7E0A4105
	v_exp_f32_e32 v6, v6                                       // 0000000138B8: 7E0C4106
	v_exp_f32_e32 v7, v7                                       // 0000000138BC: 7E0E4107
	v_add_f32_e64 v4, v4, 1.0                                  // 0000000138C0: D1010004 0001E504
	v_add_f32_e64 v5, v5, 1.0                                  // 0000000138C8: D1010005 0001E505
	v_add_f32_e64 v6, v6, 1.0                                  // 0000000138D0: D1010006 0001E506
	v_add_f32_e64 v7, v7, 1.0                                  // 0000000138D8: D1010007 0001E507
	v_rcp_f32_e32 v4, v4                                       // 0000000138E0: 7E084504
	v_rcp_f32_e32 v5, v5                                       // 0000000138E4: 7E0A4505
	v_rcp_f32_e32 v6, v6                                       // 0000000138E8: 7E0C4506
	v_rcp_f32_e32 v7, v7                                       // 0000000138EC: 7E0E4507
	v_mul_f32_e32 v84, v84, v4                                 // 0000000138F0: 0AA80954
	v_mul_f32_e32 v85, v85, v5                                 // 0000000138F4: 0AAA0B55
	v_mul_f32_e32 v86, v86, v6                                 // 0000000138F8: 0AAC0D56
	v_mul_f32_e32 v87, v87, v7                                 // 0000000138FC: 0AAE0F57
	v_mul_f32_e32 v84, v84, v180                               // 000000013900: 0AA96954
	v_mul_f32_e32 v85, v85, v181                               // 000000013904: 0AAB6B55
	v_mul_f32_e32 v86, v86, v182                               // 000000013908: 0AAD6D56
	v_mul_f32_e32 v87, v87, v183                               // 00000001390C: 0AAF6F57
	v_pk_mul_f32 v[4:5], v[88:89], v[88:89]                    // 000000013910: D3B14004 1802B158
	v_pk_mul_f32 v[6:7], v[90:91], v[90:91]                    // 000000013918: D3B14006 1802B55A
	v_pk_fma_f32 v[4:5], v[4:5], s[78:79], v[8:9]              // 000000013920: D3B04004 1C209D04
	v_pk_fma_f32 v[6:7], v[6:7], s[78:79], v[8:9]              // 000000013928: D3B04006 1C209D06
	v_pk_mul_f32 v[4:5], v[4:5], v[88:89]                      // 000000013930: D3B14004 1802B104
	v_pk_mul_f32 v[6:7], v[6:7], v[90:91]                      // 000000013938: D3B14006 1802B506
	v_pk_mul_f32 v[4:5], v[4:5], s[60:61]                      // 000000013940: D3B14004 18007904
	v_pk_mul_f32 v[6:7], v[6:7], s[60:61]                      // 000000013948: D3B14006 18007906
	v_exp_f32_e32 v4, v4                                       // 000000013950: 7E084104
	v_exp_f32_e32 v5, v5                                       // 000000013954: 7E0A4105
	v_exp_f32_e32 v6, v6                                       // 000000013958: 7E0C4106
	v_exp_f32_e32 v7, v7                                       // 00000001395C: 7E0E4107
	v_add_f32_e64 v4, v4, 1.0                                  // 000000013960: D1010004 0001E504
	v_add_f32_e64 v5, v5, 1.0                                  // 000000013968: D1010005 0001E505
	v_add_f32_e64 v6, v6, 1.0                                  // 000000013970: D1010006 0001E506
	v_add_f32_e64 v7, v7, 1.0                                  // 000000013978: D1010007 0001E507
	v_rcp_f32_e32 v4, v4                                       // 000000013980: 7E084504
	v_rcp_f32_e32 v5, v5                                       // 000000013984: 7E0A4505
	v_rcp_f32_e32 v6, v6                                       // 000000013988: 7E0C4506
	v_rcp_f32_e32 v7, v7                                       // 00000001398C: 7E0E4507
	v_mul_f32_e32 v88, v88, v4                                 // 000000013990: 0AB00958
	v_mul_f32_e32 v89, v89, v5                                 // 000000013994: 0AB20B59
	v_mul_f32_e32 v90, v90, v6                                 // 000000013998: 0AB40D5A
	v_mul_f32_e32 v91, v91, v7                                 // 00000001399C: 0AB60F5B
	v_mul_f32_e32 v88, v88, v184                               // 0000000139A0: 0AB17158
	v_mul_f32_e32 v89, v89, v185                               // 0000000139A4: 0AB37359
	v_mul_f32_e32 v90, v90, v186                               // 0000000139A8: 0AB5755A
	v_mul_f32_e32 v91, v91, v187                               // 0000000139AC: 0AB7775B
	v_pk_mul_f32 v[4:5], v[92:93], v[92:93]                    // 0000000139B0: D3B14004 1802B95C
	v_pk_mul_f32 v[6:7], v[94:95], v[94:95]                    // 0000000139B8: D3B14006 1802BD5E
	v_pk_fma_f32 v[4:5], v[4:5], s[78:79], v[8:9]              // 0000000139C0: D3B04004 1C209D04
	v_pk_fma_f32 v[6:7], v[6:7], s[78:79], v[8:9]              // 0000000139C8: D3B04006 1C209D06
	v_pk_mul_f32 v[4:5], v[4:5], v[92:93]                      // 0000000139D0: D3B14004 1802B904
	v_pk_mul_f32 v[6:7], v[6:7], v[94:95]                      // 0000000139D8: D3B14006 1802BD06
	v_pk_mul_f32 v[4:5], v[4:5], s[60:61]                      // 0000000139E0: D3B14004 18007904
	v_pk_mul_f32 v[6:7], v[6:7], s[60:61]                      // 0000000139E8: D3B14006 18007906
	v_exp_f32_e32 v4, v4                                       // 0000000139F0: 7E084104
	v_exp_f32_e32 v5, v5                                       // 0000000139F4: 7E0A4105
	v_exp_f32_e32 v6, v6                                       // 0000000139F8: 7E0C4106
	v_exp_f32_e32 v7, v7                                       // 0000000139FC: 7E0E4107
	v_add_f32_e64 v4, v4, 1.0                                  // 000000013A00: D1010004 0001E504
	v_add_f32_e64 v5, v5, 1.0                                  // 000000013A08: D1010005 0001E505
	v_add_f32_e64 v6, v6, 1.0                                  // 000000013A10: D1010006 0001E506
	v_add_f32_e64 v7, v7, 1.0                                  // 000000013A18: D1010007 0001E507
	v_rcp_f32_e32 v4, v4                                       // 000000013A20: 7E084504
	v_rcp_f32_e32 v5, v5                                       // 000000013A24: 7E0A4505
	v_rcp_f32_e32 v6, v6                                       // 000000013A28: 7E0C4506
	v_rcp_f32_e32 v7, v7                                       // 000000013A2C: 7E0E4507
	v_mul_f32_e32 v92, v92, v4                                 // 000000013A30: 0AB8095C
	v_mul_f32_e32 v93, v93, v5                                 // 000000013A34: 0ABA0B5D
	v_mul_f32_e32 v94, v94, v6                                 // 000000013A38: 0ABC0D5E
	v_mul_f32_e32 v95, v95, v7                                 // 000000013A3C: 0ABE0F5F
	v_mul_f32_e32 v92, v92, v188                               // 000000013A40: 0AB9795C
	v_mul_f32_e32 v93, v93, v189                               // 000000013A44: 0ABB7B5D
	v_mul_f32_e32 v94, v94, v190                               // 000000013A48: 0ABD7D5E
	v_mul_f32_e32 v95, v95, v191                               // 000000013A4C: 0ABF7F5F
	v_pk_mul_f32 v[4:5], v[96:97], v[96:97]                    // 000000013A50: D3B14004 1802C160
	v_pk_mul_f32 v[6:7], v[98:99], v[98:99]                    // 000000013A58: D3B14006 1802C562
	v_pk_fma_f32 v[4:5], v[4:5], s[78:79], v[8:9]              // 000000013A60: D3B04004 1C209D04
	v_pk_fma_f32 v[6:7], v[6:7], s[78:79], v[8:9]              // 000000013A68: D3B04006 1C209D06
	v_pk_mul_f32 v[4:5], v[4:5], v[96:97]                      // 000000013A70: D3B14004 1802C104
	v_pk_mul_f32 v[6:7], v[6:7], v[98:99]                      // 000000013A78: D3B14006 1802C506
	v_pk_mul_f32 v[4:5], v[4:5], s[60:61]                      // 000000013A80: D3B14004 18007904
	v_pk_mul_f32 v[6:7], v[6:7], s[60:61]                      // 000000013A88: D3B14006 18007906
	v_exp_f32_e32 v4, v4                                       // 000000013A90: 7E084104
	v_exp_f32_e32 v5, v5                                       // 000000013A94: 7E0A4105
	v_exp_f32_e32 v6, v6                                       // 000000013A98: 7E0C4106
	v_exp_f32_e32 v7, v7                                       // 000000013A9C: 7E0E4107
	v_add_f32_e64 v4, v4, 1.0                                  // 000000013AA0: D1010004 0001E504
	v_add_f32_e64 v5, v5, 1.0                                  // 000000013AA8: D1010005 0001E505
	v_add_f32_e64 v6, v6, 1.0                                  // 000000013AB0: D1010006 0001E506
	v_add_f32_e64 v7, v7, 1.0                                  // 000000013AB8: D1010007 0001E507
	v_rcp_f32_e32 v4, v4                                       // 000000013AC0: 7E084504
	v_rcp_f32_e32 v5, v5                                       // 000000013AC4: 7E0A4505
	v_rcp_f32_e32 v6, v6                                       // 000000013AC8: 7E0C4506
	v_rcp_f32_e32 v7, v7                                       // 000000013ACC: 7E0E4507
	v_mul_f32_e32 v96, v96, v4                                 // 000000013AD0: 0AC00960
	v_mul_f32_e32 v97, v97, v5                                 // 000000013AD4: 0AC20B61
	v_mul_f32_e32 v98, v98, v6                                 // 000000013AD8: 0AC40D62
	v_mul_f32_e32 v99, v99, v7                                 // 000000013ADC: 0AC60F63
	v_mul_f32_e32 v96, v96, v192                               // 000000013AE0: 0AC18160
	v_mul_f32_e32 v97, v97, v193                               // 000000013AE4: 0AC38361
	v_mul_f32_e32 v98, v98, v194                               // 000000013AE8: 0AC58562
	v_mul_f32_e32 v99, v99, v195                               // 000000013AEC: 0AC78763
	v_pk_mul_f32 v[4:5], v[100:101], v[100:101]                // 000000013AF0: D3B14004 1802C964
	v_pk_mul_f32 v[6:7], v[102:103], v[102:103]                // 000000013AF8: D3B14006 1802CD66
	v_pk_fma_f32 v[4:5], v[4:5], s[78:79], v[8:9]              // 000000013B00: D3B04004 1C209D04
	v_pk_fma_f32 v[6:7], v[6:7], s[78:79], v[8:9]              // 000000013B08: D3B04006 1C209D06
	v_pk_mul_f32 v[4:5], v[4:5], v[100:101]                    // 000000013B10: D3B14004 1802C904
	v_pk_mul_f32 v[6:7], v[6:7], v[102:103]                    // 000000013B18: D3B14006 1802CD06
	v_pk_mul_f32 v[4:5], v[4:5], s[60:61]                      // 000000013B20: D3B14004 18007904
	v_pk_mul_f32 v[6:7], v[6:7], s[60:61]                      // 000000013B28: D3B14006 18007906
	v_exp_f32_e32 v4, v4                                       // 000000013B30: 7E084104
	v_exp_f32_e32 v5, v5                                       // 000000013B34: 7E0A4105
	v_exp_f32_e32 v6, v6                                       // 000000013B38: 7E0C4106
	v_exp_f32_e32 v7, v7                                       // 000000013B3C: 7E0E4107
	v_add_f32_e64 v4, v4, 1.0                                  // 000000013B40: D1010004 0001E504
	v_add_f32_e64 v5, v5, 1.0                                  // 000000013B48: D1010005 0001E505
	v_add_f32_e64 v6, v6, 1.0                                  // 000000013B50: D1010006 0001E506
	v_add_f32_e64 v7, v7, 1.0                                  // 000000013B58: D1010007 0001E507
	v_rcp_f32_e32 v4, v4                                       // 000000013B60: 7E084504
	v_rcp_f32_e32 v5, v5                                       // 000000013B64: 7E0A4505
	v_rcp_f32_e32 v6, v6                                       // 000000013B68: 7E0C4506
	v_rcp_f32_e32 v7, v7                                       // 000000013B6C: 7E0E4507
	v_mul_f32_e32 v100, v100, v4                               // 000000013B70: 0AC80964
	v_mul_f32_e32 v101, v101, v5                               // 000000013B74: 0ACA0B65
	v_mul_f32_e32 v102, v102, v6                               // 000000013B78: 0ACC0D66
	v_mul_f32_e32 v103, v103, v7                               // 000000013B7C: 0ACE0F67
	v_mul_f32_e32 v100, v100, v196                             // 000000013B80: 0AC98964
	v_mul_f32_e32 v101, v101, v197                             // 000000013B84: 0ACB8B65
	v_mul_f32_e32 v102, v102, v198                             // 000000013B88: 0ACD8D66
	v_mul_f32_e32 v103, v103, v199                             // 000000013B8C: 0ACF8F67
	v_pk_mul_f32 v[4:5], v[104:105], v[104:105]                // 000000013B90: D3B14004 1802D168
	v_pk_mul_f32 v[6:7], v[106:107], v[106:107]                // 000000013B98: D3B14006 1802D56A
	v_pk_fma_f32 v[4:5], v[4:5], s[78:79], v[8:9]              // 000000013BA0: D3B04004 1C209D04
	v_pk_fma_f32 v[6:7], v[6:7], s[78:79], v[8:9]              // 000000013BA8: D3B04006 1C209D06
	v_pk_mul_f32 v[4:5], v[4:5], v[104:105]                    // 000000013BB0: D3B14004 1802D104
	v_pk_mul_f32 v[6:7], v[6:7], v[106:107]                    // 000000013BB8: D3B14006 1802D506
	v_pk_mul_f32 v[4:5], v[4:5], s[60:61]                      // 000000013BC0: D3B14004 18007904
	v_pk_mul_f32 v[6:7], v[6:7], s[60:61]                      // 000000013BC8: D3B14006 18007906
	v_exp_f32_e32 v4, v4                                       // 000000013BD0: 7E084104
	v_exp_f32_e32 v5, v5                                       // 000000013BD4: 7E0A4105
	v_exp_f32_e32 v6, v6                                       // 000000013BD8: 7E0C4106
	v_exp_f32_e32 v7, v7                                       // 000000013BDC: 7E0E4107
	v_add_f32_e64 v4, v4, 1.0                                  // 000000013BE0: D1010004 0001E504
	v_add_f32_e64 v5, v5, 1.0                                  // 000000013BE8: D1010005 0001E505
	v_add_f32_e64 v6, v6, 1.0                                  // 000000013BF0: D1010006 0001E506
	v_add_f32_e64 v7, v7, 1.0                                  // 000000013BF8: D1010007 0001E507
	v_rcp_f32_e32 v4, v4                                       // 000000013C00: 7E084504
	v_rcp_f32_e32 v5, v5                                       // 000000013C04: 7E0A4505
	v_rcp_f32_e32 v6, v6                                       // 000000013C08: 7E0C4506
	v_rcp_f32_e32 v7, v7                                       // 000000013C0C: 7E0E4507
	v_mul_f32_e32 v104, v104, v4                               // 000000013C10: 0AD00968
	v_mul_f32_e32 v105, v105, v5                               // 000000013C14: 0AD20B69
	v_mul_f32_e32 v106, v106, v6                               // 000000013C18: 0AD40D6A
	v_mul_f32_e32 v107, v107, v7                               // 000000013C1C: 0AD60F6B
	v_mul_f32_e32 v104, v104, v200                             // 000000013C20: 0AD19168
	v_mul_f32_e32 v105, v105, v201                             // 000000013C24: 0AD39369
	v_mul_f32_e32 v106, v106, v202                             // 000000013C28: 0AD5956A
	v_mul_f32_e32 v107, v107, v203                             // 000000013C2C: 0AD7976B
	v_pk_mul_f32 v[4:5], v[108:109], v[108:109]                // 000000013C30: D3B14004 1802D96C
	v_pk_mul_f32 v[6:7], v[110:111], v[110:111]                // 000000013C38: D3B14006 1802DD6E
	v_pk_fma_f32 v[4:5], v[4:5], s[78:79], v[8:9]              // 000000013C40: D3B04004 1C209D04
	v_pk_fma_f32 v[6:7], v[6:7], s[78:79], v[8:9]              // 000000013C48: D3B04006 1C209D06
	v_pk_mul_f32 v[4:5], v[4:5], v[108:109]                    // 000000013C50: D3B14004 1802D904
	v_pk_mul_f32 v[6:7], v[6:7], v[110:111]                    // 000000013C58: D3B14006 1802DD06
	v_pk_mul_f32 v[4:5], v[4:5], s[60:61]                      // 000000013C60: D3B14004 18007904
	v_pk_mul_f32 v[6:7], v[6:7], s[60:61]                      // 000000013C68: D3B14006 18007906
	v_exp_f32_e32 v4, v4                                       // 000000013C70: 7E084104
	v_exp_f32_e32 v5, v5                                       // 000000013C74: 7E0A4105
	v_exp_f32_e32 v6, v6                                       // 000000013C78: 7E0C4106
	v_exp_f32_e32 v7, v7                                       // 000000013C7C: 7E0E4107
	v_add_f32_e64 v4, v4, 1.0                                  // 000000013C80: D1010004 0001E504
	v_add_f32_e64 v5, v5, 1.0                                  // 000000013C88: D1010005 0001E505
	v_add_f32_e64 v6, v6, 1.0                                  // 000000013C90: D1010006 0001E506
	v_add_f32_e64 v7, v7, 1.0                                  // 000000013C98: D1010007 0001E507
	v_rcp_f32_e32 v4, v4                                       // 000000013CA0: 7E084504
	v_rcp_f32_e32 v5, v5                                       // 000000013CA4: 7E0A4505
	v_rcp_f32_e32 v6, v6                                       // 000000013CA8: 7E0C4506
	v_rcp_f32_e32 v7, v7                                       // 000000013CAC: 7E0E4507
	v_mul_f32_e32 v108, v108, v4                               // 000000013CB0: 0AD8096C
	v_mul_f32_e32 v109, v109, v5                               // 000000013CB4: 0ADA0B6D
	v_mul_f32_e32 v110, v110, v6                               // 000000013CB8: 0ADC0D6E
	v_mul_f32_e32 v111, v111, v7                               // 000000013CBC: 0ADE0F6F
	v_mul_f32_e32 v108, v108, v204                             // 000000013CC0: 0AD9996C
	v_mul_f32_e32 v109, v109, v205                             // 000000013CC4: 0ADB9B6D
	v_mul_f32_e32 v110, v110, v206                             // 000000013CC8: 0ADD9D6E
	v_mul_f32_e32 v111, v111, v207                             // 000000013CCC: 0ADF9F6F
	v_pk_mul_f32 v[4:5], v[112:113], v[112:113]                // 000000013CD0: D3B14004 1802E170
	v_pk_mul_f32 v[6:7], v[114:115], v[114:115]                // 000000013CD8: D3B14006 1802E572
	v_pk_fma_f32 v[4:5], v[4:5], s[78:79], v[8:9]              // 000000013CE0: D3B04004 1C209D04
	v_pk_fma_f32 v[6:7], v[6:7], s[78:79], v[8:9]              // 000000013CE8: D3B04006 1C209D06
	v_pk_mul_f32 v[4:5], v[4:5], v[112:113]                    // 000000013CF0: D3B14004 1802E104
	v_pk_mul_f32 v[6:7], v[6:7], v[114:115]                    // 000000013CF8: D3B14006 1802E506
	v_pk_mul_f32 v[4:5], v[4:5], s[60:61]                      // 000000013D00: D3B14004 18007904
	v_pk_mul_f32 v[6:7], v[6:7], s[60:61]                      // 000000013D08: D3B14006 18007906
	v_exp_f32_e32 v4, v4                                       // 000000013D10: 7E084104
	v_exp_f32_e32 v5, v5                                       // 000000013D14: 7E0A4105
	v_exp_f32_e32 v6, v6                                       // 000000013D18: 7E0C4106
	v_exp_f32_e32 v7, v7                                       // 000000013D1C: 7E0E4107
	v_add_f32_e64 v4, v4, 1.0                                  // 000000013D20: D1010004 0001E504
	v_add_f32_e64 v5, v5, 1.0                                  // 000000013D28: D1010005 0001E505
	v_add_f32_e64 v6, v6, 1.0                                  // 000000013D30: D1010006 0001E506
	v_add_f32_e64 v7, v7, 1.0                                  // 000000013D38: D1010007 0001E507
	v_rcp_f32_e32 v4, v4                                       // 000000013D40: 7E084504
	v_rcp_f32_e32 v5, v5                                       // 000000013D44: 7E0A4505
	v_rcp_f32_e32 v6, v6                                       // 000000013D48: 7E0C4506
	v_rcp_f32_e32 v7, v7                                       // 000000013D4C: 7E0E4507
	v_mul_f32_e32 v112, v112, v4                               // 000000013D50: 0AE00970
	v_mul_f32_e32 v113, v113, v5                               // 000000013D54: 0AE20B71
	v_mul_f32_e32 v114, v114, v6                               // 000000013D58: 0AE40D72
	v_mul_f32_e32 v115, v115, v7                               // 000000013D5C: 0AE60F73
	v_mul_f32_e32 v112, v112, v208                             // 000000013D60: 0AE1A170
	v_mul_f32_e32 v113, v113, v209                             // 000000013D64: 0AE3A371
	v_mul_f32_e32 v114, v114, v210                             // 000000013D68: 0AE5A572
	v_mul_f32_e32 v115, v115, v211                             // 000000013D6C: 0AE7A773
	v_pk_mul_f32 v[4:5], v[116:117], v[116:117]                // 000000013D70: D3B14004 1802E974
	v_pk_mul_f32 v[6:7], v[118:119], v[118:119]                // 000000013D78: D3B14006 1802ED76
	v_pk_fma_f32 v[4:5], v[4:5], s[78:79], v[8:9]              // 000000013D80: D3B04004 1C209D04
	v_pk_fma_f32 v[6:7], v[6:7], s[78:79], v[8:9]              // 000000013D88: D3B04006 1C209D06
	v_pk_mul_f32 v[4:5], v[4:5], v[116:117]                    // 000000013D90: D3B14004 1802E904
	v_pk_mul_f32 v[6:7], v[6:7], v[118:119]                    // 000000013D98: D3B14006 1802ED06
	v_pk_mul_f32 v[4:5], v[4:5], s[60:61]                      // 000000013DA0: D3B14004 18007904
	v_pk_mul_f32 v[6:7], v[6:7], s[60:61]                      // 000000013DA8: D3B14006 18007906
	v_exp_f32_e32 v4, v4                                       // 000000013DB0: 7E084104
	v_exp_f32_e32 v5, v5                                       // 000000013DB4: 7E0A4105
	v_exp_f32_e32 v6, v6                                       // 000000013DB8: 7E0C4106
	v_exp_f32_e32 v7, v7                                       // 000000013DBC: 7E0E4107
	v_add_f32_e64 v4, v4, 1.0                                  // 000000013DC0: D1010004 0001E504
	v_add_f32_e64 v5, v5, 1.0                                  // 000000013DC8: D1010005 0001E505
	v_add_f32_e64 v6, v6, 1.0                                  // 000000013DD0: D1010006 0001E506
	v_add_f32_e64 v7, v7, 1.0                                  // 000000013DD8: D1010007 0001E507
	v_rcp_f32_e32 v4, v4                                       // 000000013DE0: 7E084504
	v_rcp_f32_e32 v5, v5                                       // 000000013DE4: 7E0A4505
	v_rcp_f32_e32 v6, v6                                       // 000000013DE8: 7E0C4506
	v_rcp_f32_e32 v7, v7                                       // 000000013DEC: 7E0E4507
	v_mul_f32_e32 v116, v116, v4                               // 000000013DF0: 0AE80974
	v_mul_f32_e32 v117, v117, v5                               // 000000013DF4: 0AEA0B75
	v_mul_f32_e32 v118, v118, v6                               // 000000013DF8: 0AEC0D76
	v_mul_f32_e32 v119, v119, v7                               // 000000013DFC: 0AEE0F77
	v_mul_f32_e32 v116, v116, v212                             // 000000013E00: 0AE9A974
	v_mul_f32_e32 v117, v117, v213                             // 000000013E04: 0AEBAB75
	v_mul_f32_e32 v118, v118, v214                             // 000000013E08: 0AEDAD76
	v_mul_f32_e32 v119, v119, v215                             // 000000013E0C: 0AEFAF77
	v_pk_mul_f32 v[4:5], v[120:121], v[120:121]                // 000000013E10: D3B14004 1802F178
	v_pk_mul_f32 v[6:7], v[122:123], v[122:123]                // 000000013E18: D3B14006 1802F57A
	v_pk_fma_f32 v[4:5], v[4:5], s[78:79], v[8:9]              // 000000013E20: D3B04004 1C209D04
	v_pk_fma_f32 v[6:7], v[6:7], s[78:79], v[8:9]              // 000000013E28: D3B04006 1C209D06
	v_pk_mul_f32 v[4:5], v[4:5], v[120:121]                    // 000000013E30: D3B14004 1802F104
	v_pk_mul_f32 v[6:7], v[6:7], v[122:123]                    // 000000013E38: D3B14006 1802F506
	v_pk_mul_f32 v[4:5], v[4:5], s[60:61]                      // 000000013E40: D3B14004 18007904
	v_pk_mul_f32 v[6:7], v[6:7], s[60:61]                      // 000000013E48: D3B14006 18007906
	v_exp_f32_e32 v4, v4                                       // 000000013E50: 7E084104
	v_exp_f32_e32 v5, v5                                       // 000000013E54: 7E0A4105
	v_exp_f32_e32 v6, v6                                       // 000000013E58: 7E0C4106
	v_exp_f32_e32 v7, v7                                       // 000000013E5C: 7E0E4107
	v_add_f32_e64 v4, v4, 1.0                                  // 000000013E60: D1010004 0001E504
	v_add_f32_e64 v5, v5, 1.0                                  // 000000013E68: D1010005 0001E505
	v_add_f32_e64 v6, v6, 1.0                                  // 000000013E70: D1010006 0001E506
	v_add_f32_e64 v7, v7, 1.0                                  // 000000013E78: D1010007 0001E507
	v_rcp_f32_e32 v4, v4                                       // 000000013E80: 7E084504
	v_rcp_f32_e32 v5, v5                                       // 000000013E84: 7E0A4505
	v_rcp_f32_e32 v6, v6                                       // 000000013E88: 7E0C4506
	v_rcp_f32_e32 v7, v7                                       // 000000013E8C: 7E0E4507
	v_mul_f32_e32 v120, v120, v4                               // 000000013E90: 0AF00978
	v_mul_f32_e32 v121, v121, v5                               // 000000013E94: 0AF20B79
	v_mul_f32_e32 v122, v122, v6                               // 000000013E98: 0AF40D7A
	v_mul_f32_e32 v123, v123, v7                               // 000000013E9C: 0AF60F7B
	v_mul_f32_e32 v120, v120, v216                             // 000000013EA0: 0AF1B178
	v_mul_f32_e32 v121, v121, v217                             // 000000013EA4: 0AF3B379
	v_mul_f32_e32 v122, v122, v218                             // 000000013EA8: 0AF5B57A
	v_mul_f32_e32 v123, v123, v219                             // 000000013EAC: 0AF7B77B
	v_pk_mul_f32 v[4:5], v[124:125], v[124:125]                // 000000013EB0: D3B14004 1802F97C
	v_pk_mul_f32 v[6:7], v[126:127], v[126:127]                // 000000013EB8: D3B14006 1802FD7E
	v_pk_fma_f32 v[4:5], v[4:5], s[78:79], v[8:9]              // 000000013EC0: D3B04004 1C209D04
	v_pk_fma_f32 v[6:7], v[6:7], s[78:79], v[8:9]              // 000000013EC8: D3B04006 1C209D06
	v_pk_mul_f32 v[4:5], v[4:5], v[124:125]                    // 000000013ED0: D3B14004 1802F904
	v_pk_mul_f32 v[6:7], v[6:7], v[126:127]                    // 000000013ED8: D3B14006 1802FD06
	v_pk_mul_f32 v[4:5], v[4:5], s[60:61]                      // 000000013EE0: D3B14004 18007904
	v_pk_mul_f32 v[6:7], v[6:7], s[60:61]                      // 000000013EE8: D3B14006 18007906
	v_exp_f32_e32 v4, v4                                       // 000000013EF0: 7E084104
	v_exp_f32_e32 v5, v5                                       // 000000013EF4: 7E0A4105
	v_exp_f32_e32 v6, v6                                       // 000000013EF8: 7E0C4106
	v_exp_f32_e32 v7, v7                                       // 000000013EFC: 7E0E4107
	v_add_f32_e64 v4, v4, 1.0                                  // 000000013F00: D1010004 0001E504
	v_add_f32_e64 v5, v5, 1.0                                  // 000000013F08: D1010005 0001E505
	v_add_f32_e64 v6, v6, 1.0                                  // 000000013F10: D1010006 0001E506
	v_add_f32_e64 v7, v7, 1.0                                  // 000000013F18: D1010007 0001E507
	v_rcp_f32_e32 v4, v4                                       // 000000013F20: 7E084504
	v_rcp_f32_e32 v5, v5                                       // 000000013F24: 7E0A4505
	v_rcp_f32_e32 v6, v6                                       // 000000013F28: 7E0C4506
	v_rcp_f32_e32 v7, v7                                       // 000000013F2C: 7E0E4507
	v_mul_f32_e32 v124, v124, v4                               // 000000013F30: 0AF8097C
	v_mul_f32_e32 v125, v125, v5                               // 000000013F34: 0AFA0B7D
	v_mul_f32_e32 v126, v126, v6                               // 000000013F38: 0AFC0D7E
	v_mul_f32_e32 v127, v127, v7                               // 000000013F3C: 0AFE0F7F
	v_mul_f32_e32 v124, v124, v220                             // 000000013F40: 0AF9B97C
	v_mul_f32_e32 v125, v125, v221                             // 000000013F44: 0AFBBB7D
	v_mul_f32_e32 v126, v126, v222                             // 000000013F48: 0AFDBD7E
	v_mul_f32_e32 v127, v127, v223                             // 000000013F4C: 0AFFBF7F
	v_pk_mul_f32 v[4:5], v[128:129], v[128:129]                // 000000013F50: D3B14004 18030180
	v_pk_mul_f32 v[6:7], v[130:131], v[130:131]                // 000000013F58: D3B14006 18030582
	v_pk_fma_f32 v[4:5], v[4:5], s[78:79], v[8:9]              // 000000013F60: D3B04004 1C209D04
	v_pk_fma_f32 v[6:7], v[6:7], s[78:79], v[8:9]              // 000000013F68: D3B04006 1C209D06
	v_pk_mul_f32 v[4:5], v[4:5], v[128:129]                    // 000000013F70: D3B14004 18030104
	v_pk_mul_f32 v[6:7], v[6:7], v[130:131]                    // 000000013F78: D3B14006 18030506
	v_pk_mul_f32 v[4:5], v[4:5], s[60:61]                      // 000000013F80: D3B14004 18007904
	v_pk_mul_f32 v[6:7], v[6:7], s[60:61]                      // 000000013F88: D3B14006 18007906
	v_exp_f32_e32 v4, v4                                       // 000000013F90: 7E084104
	v_exp_f32_e32 v5, v5                                       // 000000013F94: 7E0A4105
	v_exp_f32_e32 v6, v6                                       // 000000013F98: 7E0C4106
	v_exp_f32_e32 v7, v7                                       // 000000013F9C: 7E0E4107
	v_add_f32_e64 v4, v4, 1.0                                  // 000000013FA0: D1010004 0001E504
	v_add_f32_e64 v5, v5, 1.0                                  // 000000013FA8: D1010005 0001E505
	v_add_f32_e64 v6, v6, 1.0                                  // 000000013FB0: D1010006 0001E506
	v_add_f32_e64 v7, v7, 1.0                                  // 000000013FB8: D1010007 0001E507
	v_rcp_f32_e32 v4, v4                                       // 000000013FC0: 7E084504
	v_rcp_f32_e32 v5, v5                                       // 000000013FC4: 7E0A4505
	v_rcp_f32_e32 v6, v6                                       // 000000013FC8: 7E0C4506
	v_rcp_f32_e32 v7, v7                                       // 000000013FCC: 7E0E4507
	v_mul_f32_e32 v128, v128, v4                               // 000000013FD0: 0B000980
	v_mul_f32_e32 v129, v129, v5                               // 000000013FD4: 0B020B81
	v_mul_f32_e32 v130, v130, v6                               // 000000013FD8: 0B040D82
	v_mul_f32_e32 v131, v131, v7                               // 000000013FDC: 0B060F83
	v_mul_f32_e32 v128, v128, v224                             // 000000013FE0: 0B01C180
	v_mul_f32_e32 v129, v129, v225                             // 000000013FE4: 0B03C381
	v_mul_f32_e32 v130, v130, v226                             // 000000013FE8: 0B05C582
	v_mul_f32_e32 v131, v131, v227                             // 000000013FEC: 0B07C783
	v_pk_mul_f32 v[4:5], v[132:133], v[132:133]                // 000000013FF0: D3B14004 18030984
	v_pk_mul_f32 v[6:7], v[134:135], v[134:135]                // 000000013FF8: D3B14006 18030D86
	v_pk_fma_f32 v[4:5], v[4:5], s[78:79], v[8:9]              // 000000014000: D3B04004 1C209D04
	v_pk_fma_f32 v[6:7], v[6:7], s[78:79], v[8:9]              // 000000014008: D3B04006 1C209D06
	v_pk_mul_f32 v[4:5], v[4:5], v[132:133]                    // 000000014010: D3B14004 18030904
	v_pk_mul_f32 v[6:7], v[6:7], v[134:135]                    // 000000014018: D3B14006 18030D06
	v_pk_mul_f32 v[4:5], v[4:5], s[60:61]                      // 000000014020: D3B14004 18007904
	v_pk_mul_f32 v[6:7], v[6:7], s[60:61]                      // 000000014028: D3B14006 18007906
	v_exp_f32_e32 v4, v4                                       // 000000014030: 7E084104
	v_exp_f32_e32 v5, v5                                       // 000000014034: 7E0A4105
	v_exp_f32_e32 v6, v6                                       // 000000014038: 7E0C4106
	v_exp_f32_e32 v7, v7                                       // 00000001403C: 7E0E4107
	v_add_f32_e64 v4, v4, 1.0                                  // 000000014040: D1010004 0001E504
	v_add_f32_e64 v5, v5, 1.0                                  // 000000014048: D1010005 0001E505
	v_add_f32_e64 v6, v6, 1.0                                  // 000000014050: D1010006 0001E506
	v_add_f32_e64 v7, v7, 1.0                                  // 000000014058: D1010007 0001E507
	v_rcp_f32_e32 v4, v4                                       // 000000014060: 7E084504
	v_rcp_f32_e32 v5, v5                                       // 000000014064: 7E0A4505
	v_rcp_f32_e32 v6, v6                                       // 000000014068: 7E0C4506
	v_rcp_f32_e32 v7, v7                                       // 00000001406C: 7E0E4507
	v_mul_f32_e32 v132, v132, v4                               // 000000014070: 0B080984
	v_mul_f32_e32 v133, v133, v5                               // 000000014074: 0B0A0B85
	v_mul_f32_e32 v134, v134, v6                               // 000000014078: 0B0C0D86
	v_mul_f32_e32 v135, v135, v7                               // 00000001407C: 0B0E0F87
	v_mul_f32_e32 v132, v132, v228                             // 000000014080: 0B09C984
	v_mul_f32_e32 v133, v133, v229                             // 000000014084: 0B0BCB85
	v_mul_f32_e32 v134, v134, v230                             // 000000014088: 0B0DCD86
	v_mul_f32_e32 v135, v135, v231                             // 00000001408C: 0B0FCF87
	v_pk_mul_f32 v[4:5], v[136:137], v[136:137]                // 000000014090: D3B14004 18031188
	v_pk_mul_f32 v[6:7], v[138:139], v[138:139]                // 000000014098: D3B14006 1803158A
	v_pk_fma_f32 v[4:5], v[4:5], s[78:79], v[8:9]              // 0000000140A0: D3B04004 1C209D04
	v_pk_fma_f32 v[6:7], v[6:7], s[78:79], v[8:9]              // 0000000140A8: D3B04006 1C209D06
	v_pk_mul_f32 v[4:5], v[4:5], v[136:137]                    // 0000000140B0: D3B14004 18031104
	v_pk_mul_f32 v[6:7], v[6:7], v[138:139]                    // 0000000140B8: D3B14006 18031506
	v_pk_mul_f32 v[4:5], v[4:5], s[60:61]                      // 0000000140C0: D3B14004 18007904
	v_pk_mul_f32 v[6:7], v[6:7], s[60:61]                      // 0000000140C8: D3B14006 18007906
	v_exp_f32_e32 v4, v4                                       // 0000000140D0: 7E084104
	v_exp_f32_e32 v5, v5                                       // 0000000140D4: 7E0A4105
	v_exp_f32_e32 v6, v6                                       // 0000000140D8: 7E0C4106
	v_exp_f32_e32 v7, v7                                       // 0000000140DC: 7E0E4107
	v_add_f32_e64 v4, v4, 1.0                                  // 0000000140E0: D1010004 0001E504
	v_add_f32_e64 v5, v5, 1.0                                  // 0000000140E8: D1010005 0001E505
	v_add_f32_e64 v6, v6, 1.0                                  // 0000000140F0: D1010006 0001E506
	v_add_f32_e64 v7, v7, 1.0                                  // 0000000140F8: D1010007 0001E507
	v_rcp_f32_e32 v4, v4                                       // 000000014100: 7E084504
	v_rcp_f32_e32 v5, v5                                       // 000000014104: 7E0A4505
	v_rcp_f32_e32 v6, v6                                       // 000000014108: 7E0C4506
	v_rcp_f32_e32 v7, v7                                       // 00000001410C: 7E0E4507
	v_mul_f32_e32 v136, v136, v4                               // 000000014110: 0B100988
	v_mul_f32_e32 v137, v137, v5                               // 000000014114: 0B120B89
	v_mul_f32_e32 v138, v138, v6                               // 000000014118: 0B140D8A
	v_mul_f32_e32 v139, v139, v7                               // 00000001411C: 0B160F8B
	v_mul_f32_e32 v136, v136, v232                             // 000000014120: 0B11D188
	v_mul_f32_e32 v137, v137, v233                             // 000000014124: 0B13D389
	v_mul_f32_e32 v138, v138, v234                             // 000000014128: 0B15D58A
	v_mul_f32_e32 v139, v139, v235                             // 00000001412C: 0B17D78B
	v_pk_mul_f32 v[4:5], v[140:141], v[140:141]                // 000000014130: D3B14004 1803198C
	v_pk_mul_f32 v[6:7], v[142:143], v[142:143]                // 000000014138: D3B14006 18031D8E
	v_pk_fma_f32 v[4:5], v[4:5], s[78:79], v[8:9]              // 000000014140: D3B04004 1C209D04
	v_pk_fma_f32 v[6:7], v[6:7], s[78:79], v[8:9]              // 000000014148: D3B04006 1C209D06
	v_pk_mul_f32 v[4:5], v[4:5], v[140:141]                    // 000000014150: D3B14004 18031904
	v_pk_mul_f32 v[6:7], v[6:7], v[142:143]                    // 000000014158: D3B14006 18031D06
	v_pk_mul_f32 v[4:5], v[4:5], s[60:61]                      // 000000014160: D3B14004 18007904
	v_pk_mul_f32 v[6:7], v[6:7], s[60:61]                      // 000000014168: D3B14006 18007906
	v_exp_f32_e32 v4, v4                                       // 000000014170: 7E084104
	v_exp_f32_e32 v5, v5                                       // 000000014174: 7E0A4105
	v_exp_f32_e32 v6, v6                                       // 000000014178: 7E0C4106
	v_exp_f32_e32 v7, v7                                       // 00000001417C: 7E0E4107
	v_add_f32_e64 v4, v4, 1.0                                  // 000000014180: D1010004 0001E504
	v_add_f32_e64 v5, v5, 1.0                                  // 000000014188: D1010005 0001E505
	v_add_f32_e64 v6, v6, 1.0                                  // 000000014190: D1010006 0001E506
	v_add_f32_e64 v7, v7, 1.0                                  // 000000014198: D1010007 0001E507
	v_rcp_f32_e32 v4, v4                                       // 0000000141A0: 7E084504
	v_rcp_f32_e32 v5, v5                                       // 0000000141A4: 7E0A4505
	v_rcp_f32_e32 v6, v6                                       // 0000000141A8: 7E0C4506
	v_rcp_f32_e32 v7, v7                                       // 0000000141AC: 7E0E4507
	v_mul_f32_e32 v140, v140, v4                               // 0000000141B0: 0B18098C
	v_mul_f32_e32 v141, v141, v5                               // 0000000141B4: 0B1A0B8D
	v_mul_f32_e32 v142, v142, v6                               // 0000000141B8: 0B1C0D8E
	v_mul_f32_e32 v143, v143, v7                               // 0000000141BC: 0B1E0F8F
	v_mul_f32_e32 v140, v140, v236                             // 0000000141C0: 0B19D98C
	v_mul_f32_e32 v141, v141, v237                             // 0000000141C4: 0B1BDB8D
	v_mul_f32_e32 v142, v142, v238                             // 0000000141C8: 0B1DDD8E
	v_mul_f32_e32 v143, v143, v239                             // 0000000141CC: 0B1FDF8F
	v_pk_mul_f32 v[4:5], v[144:145], v[144:145]                // 0000000141D0: D3B14004 18032190
	v_pk_mul_f32 v[6:7], v[146:147], v[146:147]                // 0000000141D8: D3B14006 18032592
	v_pk_fma_f32 v[4:5], v[4:5], s[78:79], v[8:9]              // 0000000141E0: D3B04004 1C209D04
	v_pk_fma_f32 v[6:7], v[6:7], s[78:79], v[8:9]              // 0000000141E8: D3B04006 1C209D06
	v_pk_mul_f32 v[4:5], v[4:5], v[144:145]                    // 0000000141F0: D3B14004 18032104
	v_pk_mul_f32 v[6:7], v[6:7], v[146:147]                    // 0000000141F8: D3B14006 18032506
	v_pk_mul_f32 v[4:5], v[4:5], s[60:61]                      // 000000014200: D3B14004 18007904
	v_pk_mul_f32 v[6:7], v[6:7], s[60:61]                      // 000000014208: D3B14006 18007906
	v_exp_f32_e32 v4, v4                                       // 000000014210: 7E084104
	v_exp_f32_e32 v5, v5                                       // 000000014214: 7E0A4105
	v_exp_f32_e32 v6, v6                                       // 000000014218: 7E0C4106
	v_exp_f32_e32 v7, v7                                       // 00000001421C: 7E0E4107
	v_add_f32_e64 v4, v4, 1.0                                  // 000000014220: D1010004 0001E504
	v_add_f32_e64 v5, v5, 1.0                                  // 000000014228: D1010005 0001E505
	v_add_f32_e64 v6, v6, 1.0                                  // 000000014230: D1010006 0001E506
	v_add_f32_e64 v7, v7, 1.0                                  // 000000014238: D1010007 0001E507
	v_rcp_f32_e32 v4, v4                                       // 000000014240: 7E084504
	v_rcp_f32_e32 v5, v5                                       // 000000014244: 7E0A4505
	v_rcp_f32_e32 v6, v6                                       // 000000014248: 7E0C4506
	v_rcp_f32_e32 v7, v7                                       // 00000001424C: 7E0E4507
	v_mul_f32_e32 v144, v144, v4                               // 000000014250: 0B200990
	v_mul_f32_e32 v145, v145, v5                               // 000000014254: 0B220B91
	v_mul_f32_e32 v146, v146, v6                               // 000000014258: 0B240D92
	v_mul_f32_e32 v147, v147, v7                               // 00000001425C: 0B260F93
	v_mul_f32_e32 v144, v144, v240                             // 000000014260: 0B21E190
	v_mul_f32_e32 v145, v145, v241                             // 000000014264: 0B23E391
	v_mul_f32_e32 v146, v146, v242                             // 000000014268: 0B25E592
	v_mul_f32_e32 v147, v147, v243                             // 00000001426C: 0B27E793
	v_pk_mul_f32 v[4:5], v[148:149], v[148:149]                // 000000014270: D3B14004 18032994
	v_pk_mul_f32 v[6:7], v[150:151], v[150:151]                // 000000014278: D3B14006 18032D96
	v_pk_fma_f32 v[4:5], v[4:5], s[78:79], v[8:9]              // 000000014280: D3B04004 1C209D04
	v_pk_fma_f32 v[6:7], v[6:7], s[78:79], v[8:9]              // 000000014288: D3B04006 1C209D06
	v_pk_mul_f32 v[4:5], v[4:5], v[148:149]                    // 000000014290: D3B14004 18032904
	v_pk_mul_f32 v[6:7], v[6:7], v[150:151]                    // 000000014298: D3B14006 18032D06
	v_pk_mul_f32 v[4:5], v[4:5], s[60:61]                      // 0000000142A0: D3B14004 18007904
	v_pk_mul_f32 v[6:7], v[6:7], s[60:61]                      // 0000000142A8: D3B14006 18007906
	v_exp_f32_e32 v4, v4                                       // 0000000142B0: 7E084104
	v_exp_f32_e32 v5, v5                                       // 0000000142B4: 7E0A4105
	v_exp_f32_e32 v6, v6                                       // 0000000142B8: 7E0C4106
	v_exp_f32_e32 v7, v7                                       // 0000000142BC: 7E0E4107
	v_add_f32_e64 v4, v4, 1.0                                  // 0000000142C0: D1010004 0001E504
	v_add_f32_e64 v5, v5, 1.0                                  // 0000000142C8: D1010005 0001E505
	v_add_f32_e64 v6, v6, 1.0                                  // 0000000142D0: D1010006 0001E506
	v_add_f32_e64 v7, v7, 1.0                                  // 0000000142D8: D1010007 0001E507
	v_rcp_f32_e32 v4, v4                                       // 0000000142E0: 7E084504
	v_rcp_f32_e32 v5, v5                                       // 0000000142E4: 7E0A4505
	v_rcp_f32_e32 v6, v6                                       // 0000000142E8: 7E0C4506
	v_rcp_f32_e32 v7, v7                                       // 0000000142EC: 7E0E4507
	v_mul_f32_e32 v148, v148, v4                               // 0000000142F0: 0B280994
	v_mul_f32_e32 v149, v149, v5                               // 0000000142F4: 0B2A0B95
	v_mul_f32_e32 v150, v150, v6                               // 0000000142F8: 0B2C0D96
	v_mul_f32_e32 v151, v151, v7                               // 0000000142FC: 0B2E0F97
	v_mul_f32_e32 v148, v148, v244                             // 000000014300: 0B29E994
	v_mul_f32_e32 v149, v149, v245                             // 000000014304: 0B2BEB95
	v_mul_f32_e32 v150, v150, v246                             // 000000014308: 0B2DED96
	v_mul_f32_e32 v151, v151, v247                             // 00000001430C: 0B2FEF97
	s_branch label_4948                                        // 000000014310: BF820300

0000000000014314 <label_4648>:
	v_mul_f32_e64 v4, -v56, s6                                 // 000000014314: D1050004 20000D38
	v_mul_f32_e64 v5, -v57, s6                                 // 00000001431C: D1050005 20000D39
	v_mul_f32_e64 v6, -v58, s6                                 // 000000014324: D1050006 20000D3A
	v_mul_f32_e64 v7, -v59, s6                                 // 00000001432C: D1050007 20000D3B
	v_exp_f32_e32 v4, v4                                       // 000000014334: 7E084104
	v_exp_f32_e32 v5, v5                                       // 000000014338: 7E0A4105
	v_exp_f32_e32 v6, v6                                       // 00000001433C: 7E0C4106
	v_exp_f32_e32 v7, v7                                       // 000000014340: 7E0E4107
	v_add_f32_e64 v4, v4, 1.0                                  // 000000014344: D1010004 0001E504
	v_add_f32_e64 v5, v5, 1.0                                  // 00000001434C: D1010005 0001E505
	v_add_f32_e64 v6, v6, 1.0                                  // 000000014354: D1010006 0001E506
	v_add_f32_e64 v7, v7, 1.0                                  // 00000001435C: D1010007 0001E507
	v_rcp_f32_e32 v4, v4                                       // 000000014364: 7E084504
	v_rcp_f32_e32 v5, v5                                       // 000000014368: 7E0A4505
	v_rcp_f32_e32 v6, v6                                       // 00000001436C: 7E0C4506
	v_rcp_f32_e32 v7, v7                                       // 000000014370: 7E0E4507
	v_mul_f32_e32 v56, v56, v4                                 // 000000014374: 0A700938
	v_mul_f32_e32 v57, v57, v5                                 // 000000014378: 0A720B39
	v_mul_f32_e32 v58, v58, v6                                 // 00000001437C: 0A740D3A
	v_mul_f32_e32 v59, v59, v7                                 // 000000014380: 0A760F3B
	v_mul_f32_e32 v56, v56, v152                               // 000000014384: 0A713138
	v_mul_f32_e32 v57, v57, v153                               // 000000014388: 0A733339
	v_mul_f32_e32 v58, v58, v154                               // 00000001438C: 0A75353A
	v_mul_f32_e32 v59, v59, v155                               // 000000014390: 0A77373B
	v_mul_f32_e64 v4, -v60, s6                                 // 000000014394: D1050004 20000D3C
	v_mul_f32_e64 v5, -v61, s6                                 // 00000001439C: D1050005 20000D3D
	v_mul_f32_e64 v6, -v62, s6                                 // 0000000143A4: D1050006 20000D3E
	v_mul_f32_e64 v7, -v63, s6                                 // 0000000143AC: D1050007 20000D3F
	v_exp_f32_e32 v4, v4                                       // 0000000143B4: 7E084104
	v_exp_f32_e32 v5, v5                                       // 0000000143B8: 7E0A4105
	v_exp_f32_e32 v6, v6                                       // 0000000143BC: 7E0C4106
	v_exp_f32_e32 v7, v7                                       // 0000000143C0: 7E0E4107
	v_add_f32_e64 v4, v4, 1.0                                  // 0000000143C4: D1010004 0001E504
	v_add_f32_e64 v5, v5, 1.0                                  // 0000000143CC: D1010005 0001E505
	v_add_f32_e64 v6, v6, 1.0                                  // 0000000143D4: D1010006 0001E506
	v_add_f32_e64 v7, v7, 1.0                                  // 0000000143DC: D1010007 0001E507
	v_rcp_f32_e32 v4, v4                                       // 0000000143E4: 7E084504
	v_rcp_f32_e32 v5, v5                                       // 0000000143E8: 7E0A4505
	v_rcp_f32_e32 v6, v6                                       // 0000000143EC: 7E0C4506
	v_rcp_f32_e32 v7, v7                                       // 0000000143F0: 7E0E4507
	v_mul_f32_e32 v60, v60, v4                                 // 0000000143F4: 0A78093C
	v_mul_f32_e32 v61, v61, v5                                 // 0000000143F8: 0A7A0B3D
	v_mul_f32_e32 v62, v62, v6                                 // 0000000143FC: 0A7C0D3E
	v_mul_f32_e32 v63, v63, v7                                 // 000000014400: 0A7E0F3F
	v_mul_f32_e32 v60, v60, v156                               // 000000014404: 0A79393C
	v_mul_f32_e32 v61, v61, v157                               // 000000014408: 0A7B3B3D
	v_mul_f32_e32 v62, v62, v158                               // 00000001440C: 0A7D3D3E
	v_mul_f32_e32 v63, v63, v159                               // 000000014410: 0A7F3F3F
	v_mul_f32_e64 v4, -v64, s6                                 // 000000014414: D1050004 20000D40
	v_mul_f32_e64 v5, -v65, s6                                 // 00000001441C: D1050005 20000D41
	v_mul_f32_e64 v6, -v66, s6                                 // 000000014424: D1050006 20000D42
	v_mul_f32_e64 v7, -v67, s6                                 // 00000001442C: D1050007 20000D43
	v_exp_f32_e32 v4, v4                                       // 000000014434: 7E084104
	v_exp_f32_e32 v5, v5                                       // 000000014438: 7E0A4105
	v_exp_f32_e32 v6, v6                                       // 00000001443C: 7E0C4106
	v_exp_f32_e32 v7, v7                                       // 000000014440: 7E0E4107
	v_add_f32_e64 v4, v4, 1.0                                  // 000000014444: D1010004 0001E504
	v_add_f32_e64 v5, v5, 1.0                                  // 00000001444C: D1010005 0001E505
	v_add_f32_e64 v6, v6, 1.0                                  // 000000014454: D1010006 0001E506
	v_add_f32_e64 v7, v7, 1.0                                  // 00000001445C: D1010007 0001E507
	v_rcp_f32_e32 v4, v4                                       // 000000014464: 7E084504
	v_rcp_f32_e32 v5, v5                                       // 000000014468: 7E0A4505
	v_rcp_f32_e32 v6, v6                                       // 00000001446C: 7E0C4506
	v_rcp_f32_e32 v7, v7                                       // 000000014470: 7E0E4507
	v_mul_f32_e32 v64, v64, v4                                 // 000000014474: 0A800940
	v_mul_f32_e32 v65, v65, v5                                 // 000000014478: 0A820B41
	v_mul_f32_e32 v66, v66, v6                                 // 00000001447C: 0A840D42
	v_mul_f32_e32 v67, v67, v7                                 // 000000014480: 0A860F43
	v_mul_f32_e32 v64, v64, v160                               // 000000014484: 0A814140
	v_mul_f32_e32 v65, v65, v161                               // 000000014488: 0A834341
	v_mul_f32_e32 v66, v66, v162                               // 00000001448C: 0A854542
	v_mul_f32_e32 v67, v67, v163                               // 000000014490: 0A874743
	v_mul_f32_e64 v4, -v68, s6                                 // 000000014494: D1050004 20000D44
	v_mul_f32_e64 v5, -v69, s6                                 // 00000001449C: D1050005 20000D45
	v_mul_f32_e64 v6, -v70, s6                                 // 0000000144A4: D1050006 20000D46
	v_mul_f32_e64 v7, -v71, s6                                 // 0000000144AC: D1050007 20000D47
	v_exp_f32_e32 v4, v4                                       // 0000000144B4: 7E084104
	v_exp_f32_e32 v5, v5                                       // 0000000144B8: 7E0A4105
	v_exp_f32_e32 v6, v6                                       // 0000000144BC: 7E0C4106
	v_exp_f32_e32 v7, v7                                       // 0000000144C0: 7E0E4107
	v_add_f32_e64 v4, v4, 1.0                                  // 0000000144C4: D1010004 0001E504
	v_add_f32_e64 v5, v5, 1.0                                  // 0000000144CC: D1010005 0001E505
	v_add_f32_e64 v6, v6, 1.0                                  // 0000000144D4: D1010006 0001E506
	v_add_f32_e64 v7, v7, 1.0                                  // 0000000144DC: D1010007 0001E507
	v_rcp_f32_e32 v4, v4                                       // 0000000144E4: 7E084504
	v_rcp_f32_e32 v5, v5                                       // 0000000144E8: 7E0A4505
	v_rcp_f32_e32 v6, v6                                       // 0000000144EC: 7E0C4506
	v_rcp_f32_e32 v7, v7                                       // 0000000144F0: 7E0E4507
	v_mul_f32_e32 v68, v68, v4                                 // 0000000144F4: 0A880944
	v_mul_f32_e32 v69, v69, v5                                 // 0000000144F8: 0A8A0B45
	v_mul_f32_e32 v70, v70, v6                                 // 0000000144FC: 0A8C0D46
	v_mul_f32_e32 v71, v71, v7                                 // 000000014500: 0A8E0F47
	v_mul_f32_e32 v68, v68, v164                               // 000000014504: 0A894944
	v_mul_f32_e32 v69, v69, v165                               // 000000014508: 0A8B4B45
	v_mul_f32_e32 v70, v70, v166                               // 00000001450C: 0A8D4D46
	v_mul_f32_e32 v71, v71, v167                               // 000000014510: 0A8F4F47
	v_mul_f32_e64 v4, -v72, s6                                 // 000000014514: D1050004 20000D48
	v_mul_f32_e64 v5, -v73, s6                                 // 00000001451C: D1050005 20000D49
	v_mul_f32_e64 v6, -v74, s6                                 // 000000014524: D1050006 20000D4A
	v_mul_f32_e64 v7, -v75, s6                                 // 00000001452C: D1050007 20000D4B
	v_exp_f32_e32 v4, v4                                       // 000000014534: 7E084104
	v_exp_f32_e32 v5, v5                                       // 000000014538: 7E0A4105
	v_exp_f32_e32 v6, v6                                       // 00000001453C: 7E0C4106
	v_exp_f32_e32 v7, v7                                       // 000000014540: 7E0E4107
	v_add_f32_e64 v4, v4, 1.0                                  // 000000014544: D1010004 0001E504
	v_add_f32_e64 v5, v5, 1.0                                  // 00000001454C: D1010005 0001E505
	v_add_f32_e64 v6, v6, 1.0                                  // 000000014554: D1010006 0001E506
	v_add_f32_e64 v7, v7, 1.0                                  // 00000001455C: D1010007 0001E507
	v_rcp_f32_e32 v4, v4                                       // 000000014564: 7E084504
	v_rcp_f32_e32 v5, v5                                       // 000000014568: 7E0A4505
	v_rcp_f32_e32 v6, v6                                       // 00000001456C: 7E0C4506
	v_rcp_f32_e32 v7, v7                                       // 000000014570: 7E0E4507
	v_mul_f32_e32 v72, v72, v4                                 // 000000014574: 0A900948
	v_mul_f32_e32 v73, v73, v5                                 // 000000014578: 0A920B49
	v_mul_f32_e32 v74, v74, v6                                 // 00000001457C: 0A940D4A
	v_mul_f32_e32 v75, v75, v7                                 // 000000014580: 0A960F4B
	v_mul_f32_e32 v72, v72, v168                               // 000000014584: 0A915148
	v_mul_f32_e32 v73, v73, v169                               // 000000014588: 0A935349
	v_mul_f32_e32 v74, v74, v170                               // 00000001458C: 0A95554A
	v_mul_f32_e32 v75, v75, v171                               // 000000014590: 0A97574B
	v_mul_f32_e64 v4, -v76, s6                                 // 000000014594: D1050004 20000D4C
	v_mul_f32_e64 v5, -v77, s6                                 // 00000001459C: D1050005 20000D4D
	v_mul_f32_e64 v6, -v78, s6                                 // 0000000145A4: D1050006 20000D4E
	v_mul_f32_e64 v7, -v79, s6                                 // 0000000145AC: D1050007 20000D4F
	v_exp_f32_e32 v4, v4                                       // 0000000145B4: 7E084104
	v_exp_f32_e32 v5, v5                                       // 0000000145B8: 7E0A4105
	v_exp_f32_e32 v6, v6                                       // 0000000145BC: 7E0C4106
	v_exp_f32_e32 v7, v7                                       // 0000000145C0: 7E0E4107
	v_add_f32_e64 v4, v4, 1.0                                  // 0000000145C4: D1010004 0001E504
	v_add_f32_e64 v5, v5, 1.0                                  // 0000000145CC: D1010005 0001E505
	v_add_f32_e64 v6, v6, 1.0                                  // 0000000145D4: D1010006 0001E506
	v_add_f32_e64 v7, v7, 1.0                                  // 0000000145DC: D1010007 0001E507
	v_rcp_f32_e32 v4, v4                                       // 0000000145E4: 7E084504
	v_rcp_f32_e32 v5, v5                                       // 0000000145E8: 7E0A4505
	v_rcp_f32_e32 v6, v6                                       // 0000000145EC: 7E0C4506
	v_rcp_f32_e32 v7, v7                                       // 0000000145F0: 7E0E4507
	v_mul_f32_e32 v76, v76, v4                                 // 0000000145F4: 0A98094C
	v_mul_f32_e32 v77, v77, v5                                 // 0000000145F8: 0A9A0B4D
	v_mul_f32_e32 v78, v78, v6                                 // 0000000145FC: 0A9C0D4E
	v_mul_f32_e32 v79, v79, v7                                 // 000000014600: 0A9E0F4F
	v_mul_f32_e32 v76, v76, v172                               // 000000014604: 0A99594C
	v_mul_f32_e32 v77, v77, v173                               // 000000014608: 0A9B5B4D
	v_mul_f32_e32 v78, v78, v174                               // 00000001460C: 0A9D5D4E
	v_mul_f32_e32 v79, v79, v175                               // 000000014610: 0A9F5F4F
	v_mul_f32_e64 v4, -v80, s6                                 // 000000014614: D1050004 20000D50
	v_mul_f32_e64 v5, -v81, s6                                 // 00000001461C: D1050005 20000D51
	v_mul_f32_e64 v6, -v82, s6                                 // 000000014624: D1050006 20000D52
	v_mul_f32_e64 v7, -v83, s6                                 // 00000001462C: D1050007 20000D53
	v_exp_f32_e32 v4, v4                                       // 000000014634: 7E084104
	v_exp_f32_e32 v5, v5                                       // 000000014638: 7E0A4105
	v_exp_f32_e32 v6, v6                                       // 00000001463C: 7E0C4106
	v_exp_f32_e32 v7, v7                                       // 000000014640: 7E0E4107
	v_add_f32_e64 v4, v4, 1.0                                  // 000000014644: D1010004 0001E504
	v_add_f32_e64 v5, v5, 1.0                                  // 00000001464C: D1010005 0001E505
	v_add_f32_e64 v6, v6, 1.0                                  // 000000014654: D1010006 0001E506
	v_add_f32_e64 v7, v7, 1.0                                  // 00000001465C: D1010007 0001E507
	v_rcp_f32_e32 v4, v4                                       // 000000014664: 7E084504
	v_rcp_f32_e32 v5, v5                                       // 000000014668: 7E0A4505
	v_rcp_f32_e32 v6, v6                                       // 00000001466C: 7E0C4506
	v_rcp_f32_e32 v7, v7                                       // 000000014670: 7E0E4507
	v_mul_f32_e32 v80, v80, v4                                 // 000000014674: 0AA00950
	v_mul_f32_e32 v81, v81, v5                                 // 000000014678: 0AA20B51
	v_mul_f32_e32 v82, v82, v6                                 // 00000001467C: 0AA40D52
	v_mul_f32_e32 v83, v83, v7                                 // 000000014680: 0AA60F53
	v_mul_f32_e32 v80, v80, v176                               // 000000014684: 0AA16150
	v_mul_f32_e32 v81, v81, v177                               // 000000014688: 0AA36351
	v_mul_f32_e32 v82, v82, v178                               // 00000001468C: 0AA56552
	v_mul_f32_e32 v83, v83, v179                               // 000000014690: 0AA76753
	v_mul_f32_e64 v4, -v84, s6                                 // 000000014694: D1050004 20000D54
	v_mul_f32_e64 v5, -v85, s6                                 // 00000001469C: D1050005 20000D55
	v_mul_f32_e64 v6, -v86, s6                                 // 0000000146A4: D1050006 20000D56
	v_mul_f32_e64 v7, -v87, s6                                 // 0000000146AC: D1050007 20000D57
	v_exp_f32_e32 v4, v4                                       // 0000000146B4: 7E084104
	v_exp_f32_e32 v5, v5                                       // 0000000146B8: 7E0A4105
	v_exp_f32_e32 v6, v6                                       // 0000000146BC: 7E0C4106
	v_exp_f32_e32 v7, v7                                       // 0000000146C0: 7E0E4107
	v_add_f32_e64 v4, v4, 1.0                                  // 0000000146C4: D1010004 0001E504
	v_add_f32_e64 v5, v5, 1.0                                  // 0000000146CC: D1010005 0001E505
	v_add_f32_e64 v6, v6, 1.0                                  // 0000000146D4: D1010006 0001E506
	v_add_f32_e64 v7, v7, 1.0                                  // 0000000146DC: D1010007 0001E507
	v_rcp_f32_e32 v4, v4                                       // 0000000146E4: 7E084504
	v_rcp_f32_e32 v5, v5                                       // 0000000146E8: 7E0A4505
	v_rcp_f32_e32 v6, v6                                       // 0000000146EC: 7E0C4506
	v_rcp_f32_e32 v7, v7                                       // 0000000146F0: 7E0E4507
	v_mul_f32_e32 v84, v84, v4                                 // 0000000146F4: 0AA80954
	v_mul_f32_e32 v85, v85, v5                                 // 0000000146F8: 0AAA0B55
	v_mul_f32_e32 v86, v86, v6                                 // 0000000146FC: 0AAC0D56
	v_mul_f32_e32 v87, v87, v7                                 // 000000014700: 0AAE0F57
	v_mul_f32_e32 v84, v84, v180                               // 000000014704: 0AA96954
	v_mul_f32_e32 v85, v85, v181                               // 000000014708: 0AAB6B55
	v_mul_f32_e32 v86, v86, v182                               // 00000001470C: 0AAD6D56
	v_mul_f32_e32 v87, v87, v183                               // 000000014710: 0AAF6F57
	v_mul_f32_e64 v4, -v88, s6                                 // 000000014714: D1050004 20000D58
	v_mul_f32_e64 v5, -v89, s6                                 // 00000001471C: D1050005 20000D59
	v_mul_f32_e64 v6, -v90, s6                                 // 000000014724: D1050006 20000D5A
	v_mul_f32_e64 v7, -v91, s6                                 // 00000001472C: D1050007 20000D5B
	v_exp_f32_e32 v4, v4                                       // 000000014734: 7E084104
	v_exp_f32_e32 v5, v5                                       // 000000014738: 7E0A4105
	v_exp_f32_e32 v6, v6                                       // 00000001473C: 7E0C4106
	v_exp_f32_e32 v7, v7                                       // 000000014740: 7E0E4107
	v_add_f32_e64 v4, v4, 1.0                                  // 000000014744: D1010004 0001E504
	v_add_f32_e64 v5, v5, 1.0                                  // 00000001474C: D1010005 0001E505
	v_add_f32_e64 v6, v6, 1.0                                  // 000000014754: D1010006 0001E506
	v_add_f32_e64 v7, v7, 1.0                                  // 00000001475C: D1010007 0001E507
	v_rcp_f32_e32 v4, v4                                       // 000000014764: 7E084504
	v_rcp_f32_e32 v5, v5                                       // 000000014768: 7E0A4505
	v_rcp_f32_e32 v6, v6                                       // 00000001476C: 7E0C4506
	v_rcp_f32_e32 v7, v7                                       // 000000014770: 7E0E4507
	v_mul_f32_e32 v88, v88, v4                                 // 000000014774: 0AB00958
	v_mul_f32_e32 v89, v89, v5                                 // 000000014778: 0AB20B59
	v_mul_f32_e32 v90, v90, v6                                 // 00000001477C: 0AB40D5A
	v_mul_f32_e32 v91, v91, v7                                 // 000000014780: 0AB60F5B
	v_mul_f32_e32 v88, v88, v184                               // 000000014784: 0AB17158
	v_mul_f32_e32 v89, v89, v185                               // 000000014788: 0AB37359
	v_mul_f32_e32 v90, v90, v186                               // 00000001478C: 0AB5755A
	v_mul_f32_e32 v91, v91, v187                               // 000000014790: 0AB7775B
	v_mul_f32_e64 v4, -v92, s6                                 // 000000014794: D1050004 20000D5C
	v_mul_f32_e64 v5, -v93, s6                                 // 00000001479C: D1050005 20000D5D
	v_mul_f32_e64 v6, -v94, s6                                 // 0000000147A4: D1050006 20000D5E
	v_mul_f32_e64 v7, -v95, s6                                 // 0000000147AC: D1050007 20000D5F
	v_exp_f32_e32 v4, v4                                       // 0000000147B4: 7E084104
	v_exp_f32_e32 v5, v5                                       // 0000000147B8: 7E0A4105
	v_exp_f32_e32 v6, v6                                       // 0000000147BC: 7E0C4106
	v_exp_f32_e32 v7, v7                                       // 0000000147C0: 7E0E4107
	v_add_f32_e64 v4, v4, 1.0                                  // 0000000147C4: D1010004 0001E504
	v_add_f32_e64 v5, v5, 1.0                                  // 0000000147CC: D1010005 0001E505
	v_add_f32_e64 v6, v6, 1.0                                  // 0000000147D4: D1010006 0001E506
	v_add_f32_e64 v7, v7, 1.0                                  // 0000000147DC: D1010007 0001E507
	v_rcp_f32_e32 v4, v4                                       // 0000000147E4: 7E084504
	v_rcp_f32_e32 v5, v5                                       // 0000000147E8: 7E0A4505
	v_rcp_f32_e32 v6, v6                                       // 0000000147EC: 7E0C4506
	v_rcp_f32_e32 v7, v7                                       // 0000000147F0: 7E0E4507
	v_mul_f32_e32 v92, v92, v4                                 // 0000000147F4: 0AB8095C
	v_mul_f32_e32 v93, v93, v5                                 // 0000000147F8: 0ABA0B5D
	v_mul_f32_e32 v94, v94, v6                                 // 0000000147FC: 0ABC0D5E
	v_mul_f32_e32 v95, v95, v7                                 // 000000014800: 0ABE0F5F
	v_mul_f32_e32 v92, v92, v188                               // 000000014804: 0AB9795C
	v_mul_f32_e32 v93, v93, v189                               // 000000014808: 0ABB7B5D
	v_mul_f32_e32 v94, v94, v190                               // 00000001480C: 0ABD7D5E
	v_mul_f32_e32 v95, v95, v191                               // 000000014810: 0ABF7F5F
	v_mul_f32_e64 v4, -v96, s6                                 // 000000014814: D1050004 20000D60
	v_mul_f32_e64 v5, -v97, s6                                 // 00000001481C: D1050005 20000D61
	v_mul_f32_e64 v6, -v98, s6                                 // 000000014824: D1050006 20000D62
	v_mul_f32_e64 v7, -v99, s6                                 // 00000001482C: D1050007 20000D63
	v_exp_f32_e32 v4, v4                                       // 000000014834: 7E084104
	v_exp_f32_e32 v5, v5                                       // 000000014838: 7E0A4105
	v_exp_f32_e32 v6, v6                                       // 00000001483C: 7E0C4106
	v_exp_f32_e32 v7, v7                                       // 000000014840: 7E0E4107
	v_add_f32_e64 v4, v4, 1.0                                  // 000000014844: D1010004 0001E504
	v_add_f32_e64 v5, v5, 1.0                                  // 00000001484C: D1010005 0001E505
	v_add_f32_e64 v6, v6, 1.0                                  // 000000014854: D1010006 0001E506
	v_add_f32_e64 v7, v7, 1.0                                  // 00000001485C: D1010007 0001E507
	v_rcp_f32_e32 v4, v4                                       // 000000014864: 7E084504
	v_rcp_f32_e32 v5, v5                                       // 000000014868: 7E0A4505
	v_rcp_f32_e32 v6, v6                                       // 00000001486C: 7E0C4506
	v_rcp_f32_e32 v7, v7                                       // 000000014870: 7E0E4507
	v_mul_f32_e32 v96, v96, v4                                 // 000000014874: 0AC00960
	v_mul_f32_e32 v97, v97, v5                                 // 000000014878: 0AC20B61
	v_mul_f32_e32 v98, v98, v6                                 // 00000001487C: 0AC40D62
	v_mul_f32_e32 v99, v99, v7                                 // 000000014880: 0AC60F63
	v_mul_f32_e32 v96, v96, v192                               // 000000014884: 0AC18160
	v_mul_f32_e32 v97, v97, v193                               // 000000014888: 0AC38361
	v_mul_f32_e32 v98, v98, v194                               // 00000001488C: 0AC58562
	v_mul_f32_e32 v99, v99, v195                               // 000000014890: 0AC78763
	v_mul_f32_e64 v4, -v100, s6                                // 000000014894: D1050004 20000D64
	v_mul_f32_e64 v5, -v101, s6                                // 00000001489C: D1050005 20000D65
	v_mul_f32_e64 v6, -v102, s6                                // 0000000148A4: D1050006 20000D66
	v_mul_f32_e64 v7, -v103, s6                                // 0000000148AC: D1050007 20000D67
	v_exp_f32_e32 v4, v4                                       // 0000000148B4: 7E084104
	v_exp_f32_e32 v5, v5                                       // 0000000148B8: 7E0A4105
	v_exp_f32_e32 v6, v6                                       // 0000000148BC: 7E0C4106
	v_exp_f32_e32 v7, v7                                       // 0000000148C0: 7E0E4107
	v_add_f32_e64 v4, v4, 1.0                                  // 0000000148C4: D1010004 0001E504
	v_add_f32_e64 v5, v5, 1.0                                  // 0000000148CC: D1010005 0001E505
	v_add_f32_e64 v6, v6, 1.0                                  // 0000000148D4: D1010006 0001E506
	v_add_f32_e64 v7, v7, 1.0                                  // 0000000148DC: D1010007 0001E507
	v_rcp_f32_e32 v4, v4                                       // 0000000148E4: 7E084504
	v_rcp_f32_e32 v5, v5                                       // 0000000148E8: 7E0A4505
	v_rcp_f32_e32 v6, v6                                       // 0000000148EC: 7E0C4506
	v_rcp_f32_e32 v7, v7                                       // 0000000148F0: 7E0E4507
	v_mul_f32_e32 v100, v100, v4                               // 0000000148F4: 0AC80964
	v_mul_f32_e32 v101, v101, v5                               // 0000000148F8: 0ACA0B65
	v_mul_f32_e32 v102, v102, v6                               // 0000000148FC: 0ACC0D66
	v_mul_f32_e32 v103, v103, v7                               // 000000014900: 0ACE0F67
	v_mul_f32_e32 v100, v100, v196                             // 000000014904: 0AC98964
	v_mul_f32_e32 v101, v101, v197                             // 000000014908: 0ACB8B65
	v_mul_f32_e32 v102, v102, v198                             // 00000001490C: 0ACD8D66
	v_mul_f32_e32 v103, v103, v199                             // 000000014910: 0ACF8F67
	v_mul_f32_e64 v4, -v104, s6                                // 000000014914: D1050004 20000D68
	v_mul_f32_e64 v5, -v105, s6                                // 00000001491C: D1050005 20000D69
	v_mul_f32_e64 v6, -v106, s6                                // 000000014924: D1050006 20000D6A
	v_mul_f32_e64 v7, -v107, s6                                // 00000001492C: D1050007 20000D6B
	v_exp_f32_e32 v4, v4                                       // 000000014934: 7E084104
	v_exp_f32_e32 v5, v5                                       // 000000014938: 7E0A4105
	v_exp_f32_e32 v6, v6                                       // 00000001493C: 7E0C4106
	v_exp_f32_e32 v7, v7                                       // 000000014940: 7E0E4107
	v_add_f32_e64 v4, v4, 1.0                                  // 000000014944: D1010004 0001E504
	v_add_f32_e64 v5, v5, 1.0                                  // 00000001494C: D1010005 0001E505
	v_add_f32_e64 v6, v6, 1.0                                  // 000000014954: D1010006 0001E506
	v_add_f32_e64 v7, v7, 1.0                                  // 00000001495C: D1010007 0001E507
	v_rcp_f32_e32 v4, v4                                       // 000000014964: 7E084504
	v_rcp_f32_e32 v5, v5                                       // 000000014968: 7E0A4505
	v_rcp_f32_e32 v6, v6                                       // 00000001496C: 7E0C4506
	v_rcp_f32_e32 v7, v7                                       // 000000014970: 7E0E4507
	v_mul_f32_e32 v104, v104, v4                               // 000000014974: 0AD00968
	v_mul_f32_e32 v105, v105, v5                               // 000000014978: 0AD20B69
	v_mul_f32_e32 v106, v106, v6                               // 00000001497C: 0AD40D6A
	v_mul_f32_e32 v107, v107, v7                               // 000000014980: 0AD60F6B
	v_mul_f32_e32 v104, v104, v200                             // 000000014984: 0AD19168
	v_mul_f32_e32 v105, v105, v201                             // 000000014988: 0AD39369
	v_mul_f32_e32 v106, v106, v202                             // 00000001498C: 0AD5956A
	v_mul_f32_e32 v107, v107, v203                             // 000000014990: 0AD7976B
	v_mul_f32_e64 v4, -v108, s6                                // 000000014994: D1050004 20000D6C
	v_mul_f32_e64 v5, -v109, s6                                // 00000001499C: D1050005 20000D6D
	v_mul_f32_e64 v6, -v110, s6                                // 0000000149A4: D1050006 20000D6E
	v_mul_f32_e64 v7, -v111, s6                                // 0000000149AC: D1050007 20000D6F
	v_exp_f32_e32 v4, v4                                       // 0000000149B4: 7E084104
	v_exp_f32_e32 v5, v5                                       // 0000000149B8: 7E0A4105
	v_exp_f32_e32 v6, v6                                       // 0000000149BC: 7E0C4106
	v_exp_f32_e32 v7, v7                                       // 0000000149C0: 7E0E4107
	v_add_f32_e64 v4, v4, 1.0                                  // 0000000149C4: D1010004 0001E504
	v_add_f32_e64 v5, v5, 1.0                                  // 0000000149CC: D1010005 0001E505
	v_add_f32_e64 v6, v6, 1.0                                  // 0000000149D4: D1010006 0001E506
	v_add_f32_e64 v7, v7, 1.0                                  // 0000000149DC: D1010007 0001E507
	v_rcp_f32_e32 v4, v4                                       // 0000000149E4: 7E084504
	v_rcp_f32_e32 v5, v5                                       // 0000000149E8: 7E0A4505
	v_rcp_f32_e32 v6, v6                                       // 0000000149EC: 7E0C4506
	v_rcp_f32_e32 v7, v7                                       // 0000000149F0: 7E0E4507
	v_mul_f32_e32 v108, v108, v4                               // 0000000149F4: 0AD8096C
	v_mul_f32_e32 v109, v109, v5                               // 0000000149F8: 0ADA0B6D
	v_mul_f32_e32 v110, v110, v6                               // 0000000149FC: 0ADC0D6E
	v_mul_f32_e32 v111, v111, v7                               // 000000014A00: 0ADE0F6F
	v_mul_f32_e32 v108, v108, v204                             // 000000014A04: 0AD9996C
	v_mul_f32_e32 v109, v109, v205                             // 000000014A08: 0ADB9B6D
	v_mul_f32_e32 v110, v110, v206                             // 000000014A0C: 0ADD9D6E
	v_mul_f32_e32 v111, v111, v207                             // 000000014A10: 0ADF9F6F
	v_mul_f32_e64 v4, -v112, s6                                // 000000014A14: D1050004 20000D70
	v_mul_f32_e64 v5, -v113, s6                                // 000000014A1C: D1050005 20000D71
	v_mul_f32_e64 v6, -v114, s6                                // 000000014A24: D1050006 20000D72
	v_mul_f32_e64 v7, -v115, s6                                // 000000014A2C: D1050007 20000D73
	v_exp_f32_e32 v4, v4                                       // 000000014A34: 7E084104
	v_exp_f32_e32 v5, v5                                       // 000000014A38: 7E0A4105
	v_exp_f32_e32 v6, v6                                       // 000000014A3C: 7E0C4106
	v_exp_f32_e32 v7, v7                                       // 000000014A40: 7E0E4107
	v_add_f32_e64 v4, v4, 1.0                                  // 000000014A44: D1010004 0001E504
	v_add_f32_e64 v5, v5, 1.0                                  // 000000014A4C: D1010005 0001E505
	v_add_f32_e64 v6, v6, 1.0                                  // 000000014A54: D1010006 0001E506
	v_add_f32_e64 v7, v7, 1.0                                  // 000000014A5C: D1010007 0001E507
	v_rcp_f32_e32 v4, v4                                       // 000000014A64: 7E084504
	v_rcp_f32_e32 v5, v5                                       // 000000014A68: 7E0A4505
	v_rcp_f32_e32 v6, v6                                       // 000000014A6C: 7E0C4506
	v_rcp_f32_e32 v7, v7                                       // 000000014A70: 7E0E4507
	v_mul_f32_e32 v112, v112, v4                               // 000000014A74: 0AE00970
	v_mul_f32_e32 v113, v113, v5                               // 000000014A78: 0AE20B71
	v_mul_f32_e32 v114, v114, v6                               // 000000014A7C: 0AE40D72
	v_mul_f32_e32 v115, v115, v7                               // 000000014A80: 0AE60F73
	v_mul_f32_e32 v112, v112, v208                             // 000000014A84: 0AE1A170
	v_mul_f32_e32 v113, v113, v209                             // 000000014A88: 0AE3A371
	v_mul_f32_e32 v114, v114, v210                             // 000000014A8C: 0AE5A572
	v_mul_f32_e32 v115, v115, v211                             // 000000014A90: 0AE7A773
	v_mul_f32_e64 v4, -v116, s6                                // 000000014A94: D1050004 20000D74
	v_mul_f32_e64 v5, -v117, s6                                // 000000014A9C: D1050005 20000D75
	v_mul_f32_e64 v6, -v118, s6                                // 000000014AA4: D1050006 20000D76
	v_mul_f32_e64 v7, -v119, s6                                // 000000014AAC: D1050007 20000D77
	v_exp_f32_e32 v4, v4                                       // 000000014AB4: 7E084104
	v_exp_f32_e32 v5, v5                                       // 000000014AB8: 7E0A4105
	v_exp_f32_e32 v6, v6                                       // 000000014ABC: 7E0C4106
	v_exp_f32_e32 v7, v7                                       // 000000014AC0: 7E0E4107
	v_add_f32_e64 v4, v4, 1.0                                  // 000000014AC4: D1010004 0001E504
	v_add_f32_e64 v5, v5, 1.0                                  // 000000014ACC: D1010005 0001E505
	v_add_f32_e64 v6, v6, 1.0                                  // 000000014AD4: D1010006 0001E506
	v_add_f32_e64 v7, v7, 1.0                                  // 000000014ADC: D1010007 0001E507
	v_rcp_f32_e32 v4, v4                                       // 000000014AE4: 7E084504
	v_rcp_f32_e32 v5, v5                                       // 000000014AE8: 7E0A4505
	v_rcp_f32_e32 v6, v6                                       // 000000014AEC: 7E0C4506
	v_rcp_f32_e32 v7, v7                                       // 000000014AF0: 7E0E4507
	v_mul_f32_e32 v116, v116, v4                               // 000000014AF4: 0AE80974
	v_mul_f32_e32 v117, v117, v5                               // 000000014AF8: 0AEA0B75
	v_mul_f32_e32 v118, v118, v6                               // 000000014AFC: 0AEC0D76
	v_mul_f32_e32 v119, v119, v7                               // 000000014B00: 0AEE0F77
	v_mul_f32_e32 v116, v116, v212                             // 000000014B04: 0AE9A974
	v_mul_f32_e32 v117, v117, v213                             // 000000014B08: 0AEBAB75
	v_mul_f32_e32 v118, v118, v214                             // 000000014B0C: 0AEDAD76
	v_mul_f32_e32 v119, v119, v215                             // 000000014B10: 0AEFAF77
	v_mul_f32_e64 v4, -v120, s6                                // 000000014B14: D1050004 20000D78
	v_mul_f32_e64 v5, -v121, s6                                // 000000014B1C: D1050005 20000D79
	v_mul_f32_e64 v6, -v122, s6                                // 000000014B24: D1050006 20000D7A
	v_mul_f32_e64 v7, -v123, s6                                // 000000014B2C: D1050007 20000D7B
	v_exp_f32_e32 v4, v4                                       // 000000014B34: 7E084104
	v_exp_f32_e32 v5, v5                                       // 000000014B38: 7E0A4105
	v_exp_f32_e32 v6, v6                                       // 000000014B3C: 7E0C4106
	v_exp_f32_e32 v7, v7                                       // 000000014B40: 7E0E4107
	v_add_f32_e64 v4, v4, 1.0                                  // 000000014B44: D1010004 0001E504
	v_add_f32_e64 v5, v5, 1.0                                  // 000000014B4C: D1010005 0001E505
	v_add_f32_e64 v6, v6, 1.0                                  // 000000014B54: D1010006 0001E506
	v_add_f32_e64 v7, v7, 1.0                                  // 000000014B5C: D1010007 0001E507
	v_rcp_f32_e32 v4, v4                                       // 000000014B64: 7E084504
	v_rcp_f32_e32 v5, v5                                       // 000000014B68: 7E0A4505
	v_rcp_f32_e32 v6, v6                                       // 000000014B6C: 7E0C4506
	v_rcp_f32_e32 v7, v7                                       // 000000014B70: 7E0E4507
	v_mul_f32_e32 v120, v120, v4                               // 000000014B74: 0AF00978
	v_mul_f32_e32 v121, v121, v5                               // 000000014B78: 0AF20B79
	v_mul_f32_e32 v122, v122, v6                               // 000000014B7C: 0AF40D7A
	v_mul_f32_e32 v123, v123, v7                               // 000000014B80: 0AF60F7B
	v_mul_f32_e32 v120, v120, v216                             // 000000014B84: 0AF1B178
	v_mul_f32_e32 v121, v121, v217                             // 000000014B88: 0AF3B379
	v_mul_f32_e32 v122, v122, v218                             // 000000014B8C: 0AF5B57A
	v_mul_f32_e32 v123, v123, v219                             // 000000014B90: 0AF7B77B
	v_mul_f32_e64 v4, -v124, s6                                // 000000014B94: D1050004 20000D7C
	v_mul_f32_e64 v5, -v125, s6                                // 000000014B9C: D1050005 20000D7D
	v_mul_f32_e64 v6, -v126, s6                                // 000000014BA4: D1050006 20000D7E
	v_mul_f32_e64 v7, -v127, s6                                // 000000014BAC: D1050007 20000D7F
	v_exp_f32_e32 v4, v4                                       // 000000014BB4: 7E084104
	v_exp_f32_e32 v5, v5                                       // 000000014BB8: 7E0A4105
	v_exp_f32_e32 v6, v6                                       // 000000014BBC: 7E0C4106
	v_exp_f32_e32 v7, v7                                       // 000000014BC0: 7E0E4107
	v_add_f32_e64 v4, v4, 1.0                                  // 000000014BC4: D1010004 0001E504
	v_add_f32_e64 v5, v5, 1.0                                  // 000000014BCC: D1010005 0001E505
	v_add_f32_e64 v6, v6, 1.0                                  // 000000014BD4: D1010006 0001E506
	v_add_f32_e64 v7, v7, 1.0                                  // 000000014BDC: D1010007 0001E507
	v_rcp_f32_e32 v4, v4                                       // 000000014BE4: 7E084504
	v_rcp_f32_e32 v5, v5                                       // 000000014BE8: 7E0A4505
	v_rcp_f32_e32 v6, v6                                       // 000000014BEC: 7E0C4506
	v_rcp_f32_e32 v7, v7                                       // 000000014BF0: 7E0E4507
	v_mul_f32_e32 v124, v124, v4                               // 000000014BF4: 0AF8097C
	v_mul_f32_e32 v125, v125, v5                               // 000000014BF8: 0AFA0B7D
	v_mul_f32_e32 v126, v126, v6                               // 000000014BFC: 0AFC0D7E
	v_mul_f32_e32 v127, v127, v7                               // 000000014C00: 0AFE0F7F
	v_mul_f32_e32 v124, v124, v220                             // 000000014C04: 0AF9B97C
	v_mul_f32_e32 v125, v125, v221                             // 000000014C08: 0AFBBB7D
	v_mul_f32_e32 v126, v126, v222                             // 000000014C0C: 0AFDBD7E
	v_mul_f32_e32 v127, v127, v223                             // 000000014C10: 0AFFBF7F
	v_mul_f32_e64 v4, -v128, s6                                // 000000014C14: D1050004 20000D80
	v_mul_f32_e64 v5, -v129, s6                                // 000000014C1C: D1050005 20000D81
	v_mul_f32_e64 v6, -v130, s6                                // 000000014C24: D1050006 20000D82
	v_mul_f32_e64 v7, -v131, s6                                // 000000014C2C: D1050007 20000D83
	v_exp_f32_e32 v4, v4                                       // 000000014C34: 7E084104
	v_exp_f32_e32 v5, v5                                       // 000000014C38: 7E0A4105
	v_exp_f32_e32 v6, v6                                       // 000000014C3C: 7E0C4106
	v_exp_f32_e32 v7, v7                                       // 000000014C40: 7E0E4107
	v_add_f32_e64 v4, v4, 1.0                                  // 000000014C44: D1010004 0001E504
	v_add_f32_e64 v5, v5, 1.0                                  // 000000014C4C: D1010005 0001E505
	v_add_f32_e64 v6, v6, 1.0                                  // 000000014C54: D1010006 0001E506
	v_add_f32_e64 v7, v7, 1.0                                  // 000000014C5C: D1010007 0001E507
	v_rcp_f32_e32 v4, v4                                       // 000000014C64: 7E084504
	v_rcp_f32_e32 v5, v5                                       // 000000014C68: 7E0A4505
	v_rcp_f32_e32 v6, v6                                       // 000000014C6C: 7E0C4506
	v_rcp_f32_e32 v7, v7                                       // 000000014C70: 7E0E4507
	v_mul_f32_e32 v128, v128, v4                               // 000000014C74: 0B000980
	v_mul_f32_e32 v129, v129, v5                               // 000000014C78: 0B020B81
	v_mul_f32_e32 v130, v130, v6                               // 000000014C7C: 0B040D82
	v_mul_f32_e32 v131, v131, v7                               // 000000014C80: 0B060F83
	v_mul_f32_e32 v128, v128, v224                             // 000000014C84: 0B01C180
	v_mul_f32_e32 v129, v129, v225                             // 000000014C88: 0B03C381
	v_mul_f32_e32 v130, v130, v226                             // 000000014C8C: 0B05C582
	v_mul_f32_e32 v131, v131, v227                             // 000000014C90: 0B07C783
	v_mul_f32_e64 v4, -v132, s6                                // 000000014C94: D1050004 20000D84
	v_mul_f32_e64 v5, -v133, s6                                // 000000014C9C: D1050005 20000D85
	v_mul_f32_e64 v6, -v134, s6                                // 000000014CA4: D1050006 20000D86
	v_mul_f32_e64 v7, -v135, s6                                // 000000014CAC: D1050007 20000D87
	v_exp_f32_e32 v4, v4                                       // 000000014CB4: 7E084104
	v_exp_f32_e32 v5, v5                                       // 000000014CB8: 7E0A4105
	v_exp_f32_e32 v6, v6                                       // 000000014CBC: 7E0C4106
	v_exp_f32_e32 v7, v7                                       // 000000014CC0: 7E0E4107
	v_add_f32_e64 v4, v4, 1.0                                  // 000000014CC4: D1010004 0001E504
	v_add_f32_e64 v5, v5, 1.0                                  // 000000014CCC: D1010005 0001E505
	v_add_f32_e64 v6, v6, 1.0                                  // 000000014CD4: D1010006 0001E506
	v_add_f32_e64 v7, v7, 1.0                                  // 000000014CDC: D1010007 0001E507
	v_rcp_f32_e32 v4, v4                                       // 000000014CE4: 7E084504
	v_rcp_f32_e32 v5, v5                                       // 000000014CE8: 7E0A4505
	v_rcp_f32_e32 v6, v6                                       // 000000014CEC: 7E0C4506
	v_rcp_f32_e32 v7, v7                                       // 000000014CF0: 7E0E4507
	v_mul_f32_e32 v132, v132, v4                               // 000000014CF4: 0B080984
	v_mul_f32_e32 v133, v133, v5                               // 000000014CF8: 0B0A0B85
	v_mul_f32_e32 v134, v134, v6                               // 000000014CFC: 0B0C0D86
	v_mul_f32_e32 v135, v135, v7                               // 000000014D00: 0B0E0F87
	v_mul_f32_e32 v132, v132, v228                             // 000000014D04: 0B09C984
	v_mul_f32_e32 v133, v133, v229                             // 000000014D08: 0B0BCB85
	v_mul_f32_e32 v134, v134, v230                             // 000000014D0C: 0B0DCD86
	v_mul_f32_e32 v135, v135, v231                             // 000000014D10: 0B0FCF87
	v_mul_f32_e64 v4, -v136, s6                                // 000000014D14: D1050004 20000D88
	v_mul_f32_e64 v5, -v137, s6                                // 000000014D1C: D1050005 20000D89
	v_mul_f32_e64 v6, -v138, s6                                // 000000014D24: D1050006 20000D8A
	v_mul_f32_e64 v7, -v139, s6                                // 000000014D2C: D1050007 20000D8B
	v_exp_f32_e32 v4, v4                                       // 000000014D34: 7E084104
	v_exp_f32_e32 v5, v5                                       // 000000014D38: 7E0A4105
	v_exp_f32_e32 v6, v6                                       // 000000014D3C: 7E0C4106
	v_exp_f32_e32 v7, v7                                       // 000000014D40: 7E0E4107
	v_add_f32_e64 v4, v4, 1.0                                  // 000000014D44: D1010004 0001E504
	v_add_f32_e64 v5, v5, 1.0                                  // 000000014D4C: D1010005 0001E505
	v_add_f32_e64 v6, v6, 1.0                                  // 000000014D54: D1010006 0001E506
	v_add_f32_e64 v7, v7, 1.0                                  // 000000014D5C: D1010007 0001E507
	v_rcp_f32_e32 v4, v4                                       // 000000014D64: 7E084504
	v_rcp_f32_e32 v5, v5                                       // 000000014D68: 7E0A4505
	v_rcp_f32_e32 v6, v6                                       // 000000014D6C: 7E0C4506
	v_rcp_f32_e32 v7, v7                                       // 000000014D70: 7E0E4507
	v_mul_f32_e32 v136, v136, v4                               // 000000014D74: 0B100988
	v_mul_f32_e32 v137, v137, v5                               // 000000014D78: 0B120B89
	v_mul_f32_e32 v138, v138, v6                               // 000000014D7C: 0B140D8A
	v_mul_f32_e32 v139, v139, v7                               // 000000014D80: 0B160F8B
	v_mul_f32_e32 v136, v136, v232                             // 000000014D84: 0B11D188
	v_mul_f32_e32 v137, v137, v233                             // 000000014D88: 0B13D389
	v_mul_f32_e32 v138, v138, v234                             // 000000014D8C: 0B15D58A
	v_mul_f32_e32 v139, v139, v235                             // 000000014D90: 0B17D78B
	v_mul_f32_e64 v4, -v140, s6                                // 000000014D94: D1050004 20000D8C
	v_mul_f32_e64 v5, -v141, s6                                // 000000014D9C: D1050005 20000D8D
	v_mul_f32_e64 v6, -v142, s6                                // 000000014DA4: D1050006 20000D8E
	v_mul_f32_e64 v7, -v143, s6                                // 000000014DAC: D1050007 20000D8F
	v_exp_f32_e32 v4, v4                                       // 000000014DB4: 7E084104
	v_exp_f32_e32 v5, v5                                       // 000000014DB8: 7E0A4105
	v_exp_f32_e32 v6, v6                                       // 000000014DBC: 7E0C4106
	v_exp_f32_e32 v7, v7                                       // 000000014DC0: 7E0E4107
	v_add_f32_e64 v4, v4, 1.0                                  // 000000014DC4: D1010004 0001E504
	v_add_f32_e64 v5, v5, 1.0                                  // 000000014DCC: D1010005 0001E505
	v_add_f32_e64 v6, v6, 1.0                                  // 000000014DD4: D1010006 0001E506
	v_add_f32_e64 v7, v7, 1.0                                  // 000000014DDC: D1010007 0001E507
	v_rcp_f32_e32 v4, v4                                       // 000000014DE4: 7E084504
	v_rcp_f32_e32 v5, v5                                       // 000000014DE8: 7E0A4505
	v_rcp_f32_e32 v6, v6                                       // 000000014DEC: 7E0C4506
	v_rcp_f32_e32 v7, v7                                       // 000000014DF0: 7E0E4507
	v_mul_f32_e32 v140, v140, v4                               // 000000014DF4: 0B18098C
	v_mul_f32_e32 v141, v141, v5                               // 000000014DF8: 0B1A0B8D
	v_mul_f32_e32 v142, v142, v6                               // 000000014DFC: 0B1C0D8E
	v_mul_f32_e32 v143, v143, v7                               // 000000014E00: 0B1E0F8F
	v_mul_f32_e32 v140, v140, v236                             // 000000014E04: 0B19D98C
	v_mul_f32_e32 v141, v141, v237                             // 000000014E08: 0B1BDB8D
	v_mul_f32_e32 v142, v142, v238                             // 000000014E0C: 0B1DDD8E
	v_mul_f32_e32 v143, v143, v239                             // 000000014E10: 0B1FDF8F
	v_mul_f32_e64 v4, -v144, s6                                // 000000014E14: D1050004 20000D90
	v_mul_f32_e64 v5, -v145, s6                                // 000000014E1C: D1050005 20000D91
	v_mul_f32_e64 v6, -v146, s6                                // 000000014E24: D1050006 20000D92
	v_mul_f32_e64 v7, -v147, s6                                // 000000014E2C: D1050007 20000D93
	v_exp_f32_e32 v4, v4                                       // 000000014E34: 7E084104
	v_exp_f32_e32 v5, v5                                       // 000000014E38: 7E0A4105
	v_exp_f32_e32 v6, v6                                       // 000000014E3C: 7E0C4106
	v_exp_f32_e32 v7, v7                                       // 000000014E40: 7E0E4107
	v_add_f32_e64 v4, v4, 1.0                                  // 000000014E44: D1010004 0001E504
	v_add_f32_e64 v5, v5, 1.0                                  // 000000014E4C: D1010005 0001E505
	v_add_f32_e64 v6, v6, 1.0                                  // 000000014E54: D1010006 0001E506
	v_add_f32_e64 v7, v7, 1.0                                  // 000000014E5C: D1010007 0001E507
	v_rcp_f32_e32 v4, v4                                       // 000000014E64: 7E084504
	v_rcp_f32_e32 v5, v5                                       // 000000014E68: 7E0A4505
	v_rcp_f32_e32 v6, v6                                       // 000000014E6C: 7E0C4506
	v_rcp_f32_e32 v7, v7                                       // 000000014E70: 7E0E4507
	v_mul_f32_e32 v144, v144, v4                               // 000000014E74: 0B200990
	v_mul_f32_e32 v145, v145, v5                               // 000000014E78: 0B220B91
	v_mul_f32_e32 v146, v146, v6                               // 000000014E7C: 0B240D92
	v_mul_f32_e32 v147, v147, v7                               // 000000014E80: 0B260F93
	v_mul_f32_e32 v144, v144, v240                             // 000000014E84: 0B21E190
	v_mul_f32_e32 v145, v145, v241                             // 000000014E88: 0B23E391
	v_mul_f32_e32 v146, v146, v242                             // 000000014E8C: 0B25E592
	v_mul_f32_e32 v147, v147, v243                             // 000000014E90: 0B27E793
	v_mul_f32_e64 v4, -v148, s6                                // 000000014E94: D1050004 20000D94
	v_mul_f32_e64 v5, -v149, s6                                // 000000014E9C: D1050005 20000D95
	v_mul_f32_e64 v6, -v150, s6                                // 000000014EA4: D1050006 20000D96
	v_mul_f32_e64 v7, -v151, s6                                // 000000014EAC: D1050007 20000D97
	v_exp_f32_e32 v4, v4                                       // 000000014EB4: 7E084104
	v_exp_f32_e32 v5, v5                                       // 000000014EB8: 7E0A4105
	v_exp_f32_e32 v6, v6                                       // 000000014EBC: 7E0C4106
	v_exp_f32_e32 v7, v7                                       // 000000014EC0: 7E0E4107
	v_add_f32_e64 v4, v4, 1.0                                  // 000000014EC4: D1010004 0001E504
	v_add_f32_e64 v5, v5, 1.0                                  // 000000014ECC: D1010005 0001E505
	v_add_f32_e64 v6, v6, 1.0                                  // 000000014ED4: D1010006 0001E506
	v_add_f32_e64 v7, v7, 1.0                                  // 000000014EDC: D1010007 0001E507
	v_rcp_f32_e32 v4, v4                                       // 000000014EE4: 7E084504
	v_rcp_f32_e32 v5, v5                                       // 000000014EE8: 7E0A4505
	v_rcp_f32_e32 v6, v6                                       // 000000014EEC: 7E0C4506
	v_rcp_f32_e32 v7, v7                                       // 000000014EF0: 7E0E4507
	v_mul_f32_e32 v148, v148, v4                               // 000000014EF4: 0B280994
	v_mul_f32_e32 v149, v149, v5                               // 000000014EF8: 0B2A0B95
	v_mul_f32_e32 v150, v150, v6                               // 000000014EFC: 0B2C0D96
	v_mul_f32_e32 v151, v151, v7                               // 000000014F00: 0B2E0F97
	v_mul_f32_e32 v148, v148, v244                             // 000000014F04: 0B29E994
	v_mul_f32_e32 v149, v149, v245                             // 000000014F08: 0B2BEB95
	v_mul_f32_e32 v150, v150, v246                             // 000000014F0C: 0B2DED96
	v_mul_f32_e32 v151, v151, v247                             // 000000014F10: 0B2FEF97

0000000000014f14 <label_4948>:
	s_cmp_eq_u32 s7, 0                                         // 000000014F14: BF068007
	s_cbranch_scc0 label_4955                                  // 000000014F18: BF84000B
	v_and_b32_e32 v4, 15, v0                                   // 000000014F1C: 2608008F
	v_lshlrev_b32_e32 v4, 2, v4                                // 000000014F20: 24080882
	buffer_load_dword v30, v4, s[12:15], 0 offen               // 000000014F24: E0501000 80031E04
	v_add_u32_e32 v4, 64, v4                                   // 000000014F2C: 680808C0
	buffer_load_dword v31, v4, s[12:15], 0 offen               // 000000014F30: E0501000 80031F04
	v_add_u32_e32 v4, 64, v4                                   // 000000014F38: 680808C0
	buffer_load_dword v32, v4, s[12:15], 0 offen               // 000000014F3C: E0501000 80032004
	v_add_u32_e32 v4, 64, v4                                   // 000000014F44: 680808C0

0000000000014f48 <label_4955>:
	v_lshlrev_b32_e32 v4, 2, v0                                // 000000014F48: 24080082
	s_mul_i32 s60, 0x100, s7                                   // 000000014F4C: 923C07FF 00000100
	v_add_u32_e32 v164, s60, v4                                // 000000014F54: 6948083C
	v_and_b32_e32 v4, 15, v0                                   // 000000014F58: 2608008F
	v_lshlrev_b32_e32 v165, 2, v4                              // 000000014F5C: 254A0882
	s_waitcnt lgkmcnt(0)                                       // 000000014F60: BF8CC07F
	s_barrier                                                  // 000000014F64: BF8A0000
	v_mov_b32_e32 v152, 0x358637bd                             // 000000014F68: 7F3002FF 358637BD
	v_max3_f32 v152, |v56|, |v57|, v152                        // 000000014F70: D1D30398 06627338
	v_max3_f32 v152, |v58|, |v59|, v152                        // 000000014F78: D1D30398 0662773A
	v_max3_f32 v152, |v68|, |v69|, v152                        // 000000014F80: D1D30398 06628B44
	v_max3_f32 v152, |v70|, |v71|, v152                        // 000000014F88: D1D30398 06628F46
	ds_write_b32 v164, v152                                    // 000000014F90: D81A0000 000098A4
	s_waitcnt lgkmcnt(0)                                       // 000000014F98: BF8CC07F
	s_barrier                                                  // 000000014F9C: BF8A0000
	ds_read_b32 v4, v165                                       // 000000014FA0: D86C0000 040000A5
	ds_read_b32 v5, v165 offset:64                             // 000000014FA8: D86C0040 050000A5
	ds_read_b32 v6, v165 offset:128                            // 000000014FB0: D86C0080 060000A5
	ds_read_b32 v7, v165 offset:192                            // 000000014FB8: D86C00C0 070000A5
	ds_read_b32 v8, v165 offset:256                            // 000000014FC0: D86C0100 080000A5
	ds_read_b32 v9, v165 offset:320                            // 000000014FC8: D86C0140 090000A5
	ds_read_b32 v10, v165 offset:384                           // 000000014FD0: D86C0180 0A0000A5
	ds_read_b32 v11, v165 offset:448                           // 000000014FD8: D86C01C0 0B0000A5
	ds_read_b32 v12, v165 offset:512                           // 000000014FE0: D86C0200 0C0000A5
	ds_read_b32 v13, v165 offset:576                           // 000000014FE8: D86C0240 0D0000A5
	ds_read_b32 v14, v165 offset:640                           // 000000014FF0: D86C0280 0E0000A5
	ds_read_b32 v15, v165 offset:704                           // 000000014FF8: D86C02C0 0F0000A5
	ds_read_b32 v16, v165 offset:768                           // 000000015000: D86C0300 100000A5
	ds_read_b32 v17, v165 offset:832                           // 000000015008: D86C0340 110000A5
	ds_read_b32 v18, v165 offset:896                           // 000000015010: D86C0380 120000A5
	ds_read_b32 v19, v165 offset:960                           // 000000015018: D86C03C0 130000A5
	s_waitcnt lgkmcnt(0)                                       // 000000015020: BF8CC07F
	s_barrier                                                  // 000000015024: BF8A0000
	v_max3_f32 v152, |v4|, |v5|, v152                          // 000000015028: D1D30398 06620B04
	v_max3_f32 v152, |v6|, |v7|, v152                          // 000000015030: D1D30398 06620F06
	v_max3_f32 v152, |v8|, |v9|, v152                          // 000000015038: D1D30398 06621308
	v_max3_f32 v152, |v10|, |v11|, v152                        // 000000015040: D1D30398 0662170A
	v_max3_f32 v152, |v12|, |v13|, v152                        // 000000015048: D1D30398 06621B0C
	v_max3_f32 v152, |v14|, |v15|, v152                        // 000000015050: D1D30398 06621F0E
	v_max3_f32 v152, |v16|, |v17|, v152                        // 000000015058: D1D30398 06622310
	v_max3_f32 v152, |v18|, |v19|, v152                        // 000000015060: D1D30398 06622712
	v_rcp_f32_e32 v152, v152                                   // 000000015068: 7F304598
	v_mov_b32_e32 v4, 0x43700000                               // 00000001506C: 7E0802FF 43700000
	v_mul_f32_e32 v152, v4, v152                               // 000000015074: 0B313104
	v_mov_b32_e32 v4, v152                                     // 000000015078: 7E080398
	v_mov_b32_e32 v5, v4                                       // 00000001507C: 7E0A0304
	v_pk_mul_f32 v[56:57], v[4:5], v[56:57]                    // 000000015080: D3B14038 18027104
	v_pk_mul_f32 v[58:59], v[4:5], v[58:59]                    // 000000015088: D3B1403A 18027504
	v_cvt_pk_fp8_f32 v56, v56, v57                             // 000000015090: D2A20038 00027338
	v_cvt_pk_fp8_f32 v56, v58, v59 op_sel:[0,0,1]              // 000000015098: D2A24038 0002773A
	v_pk_mul_f32 v[68:69], v[4:5], v[68:69]                    // 0000000150A0: D3B14044 18028904
	v_pk_mul_f32 v[70:71], v[4:5], v[70:71]                    // 0000000150A8: D3B14046 18028D04
	v_cvt_pk_fp8_f32 v68, v68, v69                             // 0000000150B0: D2A20044 00028B44
	v_cvt_pk_fp8_f32 v68, v70, v71 op_sel:[0,0,1]              // 0000000150B8: D2A24044 00028F46
	v_rcp_f32_e32 v152, v152                                   // 0000000150C0: 7F304598
	v_mov_b32_e32 v155, 0x358637bd                             // 0000000150C4: 7F3602FF 358637BD
	v_max3_f32 v155, |v80|, |v81|, v155                        // 0000000150CC: D1D3039B 066EA350
	v_max3_f32 v155, |v82|, |v83|, v155                        // 0000000150D4: D1D3039B 066EA752
	v_max3_f32 v155, |v92|, |v93|, v155                        // 0000000150DC: D1D3039B 066EBB5C
	v_max3_f32 v155, |v94|, |v95|, v155                        // 0000000150E4: D1D3039B 066EBF5E
	ds_write_b32 v164, v155                                    // 0000000150EC: D81A0000 00009BA4
	s_waitcnt lgkmcnt(0)                                       // 0000000150F4: BF8CC07F
	s_barrier                                                  // 0000000150F8: BF8A0000
	ds_read_b32 v4, v165                                       // 0000000150FC: D86C0000 040000A5
	ds_read_b32 v5, v165 offset:64                             // 000000015104: D86C0040 050000A5
	ds_read_b32 v6, v165 offset:128                            // 00000001510C: D86C0080 060000A5
	ds_read_b32 v7, v165 offset:192                            // 000000015114: D86C00C0 070000A5
	ds_read_b32 v8, v165 offset:256                            // 00000001511C: D86C0100 080000A5
	ds_read_b32 v9, v165 offset:320                            // 000000015124: D86C0140 090000A5
	ds_read_b32 v10, v165 offset:384                           // 00000001512C: D86C0180 0A0000A5
	ds_read_b32 v11, v165 offset:448                           // 000000015134: D86C01C0 0B0000A5
	ds_read_b32 v12, v165 offset:512                           // 00000001513C: D86C0200 0C0000A5
	ds_read_b32 v13, v165 offset:576                           // 000000015144: D86C0240 0D0000A5
	ds_read_b32 v14, v165 offset:640                           // 00000001514C: D86C0280 0E0000A5
	ds_read_b32 v15, v165 offset:704                           // 000000015154: D86C02C0 0F0000A5
	ds_read_b32 v16, v165 offset:768                           // 00000001515C: D86C0300 100000A5
	ds_read_b32 v17, v165 offset:832                           // 000000015164: D86C0340 110000A5
	ds_read_b32 v18, v165 offset:896                           // 00000001516C: D86C0380 120000A5
	ds_read_b32 v19, v165 offset:960                           // 000000015174: D86C03C0 130000A5
	s_waitcnt lgkmcnt(0)                                       // 00000001517C: BF8CC07F
	s_barrier                                                  // 000000015180: BF8A0000
	v_max3_f32 v155, |v4|, |v5|, v155                          // 000000015184: D1D3039B 066E0B04
	v_max3_f32 v155, |v6|, |v7|, v155                          // 00000001518C: D1D3039B 066E0F06
	v_max3_f32 v155, |v8|, |v9|, v155                          // 000000015194: D1D3039B 066E1308
	v_max3_f32 v155, |v10|, |v11|, v155                        // 00000001519C: D1D3039B 066E170A
	v_max3_f32 v155, |v12|, |v13|, v155                        // 0000000151A4: D1D3039B 066E1B0C
	v_max3_f32 v155, |v14|, |v15|, v155                        // 0000000151AC: D1D3039B 066E1F0E
	v_max3_f32 v155, |v16|, |v17|, v155                        // 0000000151B4: D1D3039B 066E2310
	v_max3_f32 v155, |v18|, |v19|, v155                        // 0000000151BC: D1D3039B 066E2712
	v_rcp_f32_e32 v155, v155                                   // 0000000151C4: 7F36459B
	v_mov_b32_e32 v4, 0x43700000                               // 0000000151C8: 7E0802FF 43700000
	v_mul_f32_e32 v155, v4, v155                               // 0000000151D0: 0B373704
	v_mov_b32_e32 v4, v155                                     // 0000000151D4: 7E08039B
	v_mov_b32_e32 v5, v4                                       // 0000000151D8: 7E0A0304
	v_pk_mul_f32 v[80:81], v[4:5], v[80:81]                    // 0000000151DC: D3B14050 1802A104
	v_pk_mul_f32 v[82:83], v[4:5], v[82:83]                    // 0000000151E4: D3B14052 1802A504
	v_cvt_pk_fp8_f32 v80, v80, v81                             // 0000000151EC: D2A20050 0002A350
	v_cvt_pk_fp8_f32 v80, v82, v83 op_sel:[0,0,1]              // 0000000151F4: D2A24050 0002A752
	v_pk_mul_f32 v[92:93], v[4:5], v[92:93]                    // 0000000151FC: D3B1405C 1802B904
	v_pk_mul_f32 v[94:95], v[4:5], v[94:95]                    // 000000015204: D3B1405E 1802BD04
	v_cvt_pk_fp8_f32 v92, v92, v93                             // 00000001520C: D2A2005C 0002BB5C
	v_cvt_pk_fp8_f32 v92, v94, v95 op_sel:[0,0,1]              // 000000015214: D2A2405C 0002BF5E
	v_rcp_f32_e32 v155, v155                                   // 00000001521C: 7F36459B
	v_mov_b32_e32 v158, 0x358637bd                             // 000000015220: 7F3C02FF 358637BD
	v_max3_f32 v158, |v104|, |v105|, v158                      // 000000015228: D1D3039E 067AD368
	v_max3_f32 v158, |v106|, |v107|, v158                      // 000000015230: D1D3039E 067AD76A
	v_max3_f32 v158, |v116|, |v117|, v158                      // 000000015238: D1D3039E 067AEB74
	v_max3_f32 v158, |v118|, |v119|, v158                      // 000000015240: D1D3039E 067AEF76
	ds_write_b32 v164, v158                                    // 000000015248: D81A0000 00009EA4
	s_waitcnt lgkmcnt(0)                                       // 000000015250: BF8CC07F
	s_barrier                                                  // 000000015254: BF8A0000
	ds_read_b32 v4, v165                                       // 000000015258: D86C0000 040000A5
	ds_read_b32 v5, v165 offset:64                             // 000000015260: D86C0040 050000A5
	ds_read_b32 v6, v165 offset:128                            // 000000015268: D86C0080 060000A5
	ds_read_b32 v7, v165 offset:192                            // 000000015270: D86C00C0 070000A5
	ds_read_b32 v8, v165 offset:256                            // 000000015278: D86C0100 080000A5
	ds_read_b32 v9, v165 offset:320                            // 000000015280: D86C0140 090000A5
	ds_read_b32 v10, v165 offset:384                           // 000000015288: D86C0180 0A0000A5
	ds_read_b32 v11, v165 offset:448                           // 000000015290: D86C01C0 0B0000A5
	ds_read_b32 v12, v165 offset:512                           // 000000015298: D86C0200 0C0000A5
	ds_read_b32 v13, v165 offset:576                           // 0000000152A0: D86C0240 0D0000A5
	ds_read_b32 v14, v165 offset:640                           // 0000000152A8: D86C0280 0E0000A5
	ds_read_b32 v15, v165 offset:704                           // 0000000152B0: D86C02C0 0F0000A5
	ds_read_b32 v16, v165 offset:768                           // 0000000152B8: D86C0300 100000A5
	ds_read_b32 v17, v165 offset:832                           // 0000000152C0: D86C0340 110000A5
	ds_read_b32 v18, v165 offset:896                           // 0000000152C8: D86C0380 120000A5
	ds_read_b32 v19, v165 offset:960                           // 0000000152D0: D86C03C0 130000A5
	s_waitcnt lgkmcnt(0)                                       // 0000000152D8: BF8CC07F
	s_barrier                                                  // 0000000152DC: BF8A0000
	v_max3_f32 v158, |v4|, |v5|, v158                          // 0000000152E0: D1D3039E 067A0B04
	v_max3_f32 v158, |v6|, |v7|, v158                          // 0000000152E8: D1D3039E 067A0F06
	v_max3_f32 v158, |v8|, |v9|, v158                          // 0000000152F0: D1D3039E 067A1308
	v_max3_f32 v158, |v10|, |v11|, v158                        // 0000000152F8: D1D3039E 067A170A
	v_max3_f32 v158, |v12|, |v13|, v158                        // 000000015300: D1D3039E 067A1B0C
	v_max3_f32 v158, |v14|, |v15|, v158                        // 000000015308: D1D3039E 067A1F0E
	v_max3_f32 v158, |v16|, |v17|, v158                        // 000000015310: D1D3039E 067A2310
	v_max3_f32 v158, |v18|, |v19|, v158                        // 000000015318: D1D3039E 067A2712
	v_rcp_f32_e32 v158, v158                                   // 000000015320: 7F3C459E
	v_mov_b32_e32 v4, 0x43700000                               // 000000015324: 7E0802FF 43700000
	v_mul_f32_e32 v158, v4, v158                               // 00000001532C: 0B3D3D04
	v_mov_b32_e32 v4, v158                                     // 000000015330: 7E08039E
	v_mov_b32_e32 v5, v4                                       // 000000015334: 7E0A0304
	v_pk_mul_f32 v[104:105], v[4:5], v[104:105]                // 000000015338: D3B14068 1802D104
	v_pk_mul_f32 v[106:107], v[4:5], v[106:107]                // 000000015340: D3B1406A 1802D504
	v_cvt_pk_fp8_f32 v104, v104, v105                          // 000000015348: D2A20068 0002D368
	v_cvt_pk_fp8_f32 v104, v106, v107 op_sel:[0,0,1]           // 000000015350: D2A24068 0002D76A
	v_pk_mul_f32 v[116:117], v[4:5], v[116:117]                // 000000015358: D3B14074 1802E904
	v_pk_mul_f32 v[118:119], v[4:5], v[118:119]                // 000000015360: D3B14076 1802ED04
	v_cvt_pk_fp8_f32 v116, v116, v117                          // 000000015368: D2A20074 0002EB74
	v_cvt_pk_fp8_f32 v116, v118, v119 op_sel:[0,0,1]           // 000000015370: D2A24074 0002EF76
	v_rcp_f32_e32 v158, v158                                   // 000000015378: 7F3C459E
	v_mov_b32_e32 v161, 0x358637bd                             // 00000001537C: 7F4202FF 358637BD
	v_max3_f32 v161, |v128|, |v129|, v161                      // 000000015384: D1D303A1 06870380
	v_max3_f32 v161, |v130|, |v131|, v161                      // 00000001538C: D1D303A1 06870782
	v_max3_f32 v161, |v140|, |v141|, v161                      // 000000015394: D1D303A1 06871B8C
	v_max3_f32 v161, |v142|, |v143|, v161                      // 00000001539C: D1D303A1 06871F8E
	ds_write_b32 v164, v161                                    // 0000000153A4: D81A0000 0000A1A4
	s_waitcnt lgkmcnt(0)                                       // 0000000153AC: BF8CC07F
	s_barrier                                                  // 0000000153B0: BF8A0000
	ds_read_b32 v4, v165                                       // 0000000153B4: D86C0000 040000A5
	ds_read_b32 v5, v165 offset:64                             // 0000000153BC: D86C0040 050000A5
	ds_read_b32 v6, v165 offset:128                            // 0000000153C4: D86C0080 060000A5
	ds_read_b32 v7, v165 offset:192                            // 0000000153CC: D86C00C0 070000A5
	ds_read_b32 v8, v165 offset:256                            // 0000000153D4: D86C0100 080000A5
	ds_read_b32 v9, v165 offset:320                            // 0000000153DC: D86C0140 090000A5
	ds_read_b32 v10, v165 offset:384                           // 0000000153E4: D86C0180 0A0000A5
	ds_read_b32 v11, v165 offset:448                           // 0000000153EC: D86C01C0 0B0000A5
	ds_read_b32 v12, v165 offset:512                           // 0000000153F4: D86C0200 0C0000A5
	ds_read_b32 v13, v165 offset:576                           // 0000000153FC: D86C0240 0D0000A5
	ds_read_b32 v14, v165 offset:640                           // 000000015404: D86C0280 0E0000A5
	ds_read_b32 v15, v165 offset:704                           // 00000001540C: D86C02C0 0F0000A5
	ds_read_b32 v16, v165 offset:768                           // 000000015414: D86C0300 100000A5
	ds_read_b32 v17, v165 offset:832                           // 00000001541C: D86C0340 110000A5
	ds_read_b32 v18, v165 offset:896                           // 000000015424: D86C0380 120000A5
	ds_read_b32 v19, v165 offset:960                           // 00000001542C: D86C03C0 130000A5
	s_waitcnt lgkmcnt(0)                                       // 000000015434: BF8CC07F
	s_barrier                                                  // 000000015438: BF8A0000
	v_max3_f32 v161, |v4|, |v5|, v161                          // 00000001543C: D1D303A1 06860B04
	v_max3_f32 v161, |v6|, |v7|, v161                          // 000000015444: D1D303A1 06860F06
	v_max3_f32 v161, |v8|, |v9|, v161                          // 00000001544C: D1D303A1 06861308
	v_max3_f32 v161, |v10|, |v11|, v161                        // 000000015454: D1D303A1 0686170A
	v_max3_f32 v161, |v12|, |v13|, v161                        // 00000001545C: D1D303A1 06861B0C
	v_max3_f32 v161, |v14|, |v15|, v161                        // 000000015464: D1D303A1 06861F0E
	v_max3_f32 v161, |v16|, |v17|, v161                        // 00000001546C: D1D303A1 06862310
	v_max3_f32 v161, |v18|, |v19|, v161                        // 000000015474: D1D303A1 06862712
	v_rcp_f32_e32 v161, v161                                   // 00000001547C: 7F4245A1
	v_mov_b32_e32 v4, 0x43700000                               // 000000015480: 7E0802FF 43700000
	v_mul_f32_e32 v161, v4, v161                               // 000000015488: 0B434304
	v_mov_b32_e32 v4, v161                                     // 00000001548C: 7E0803A1
	v_mov_b32_e32 v5, v4                                       // 000000015490: 7E0A0304
	v_pk_mul_f32 v[128:129], v[4:5], v[128:129]                // 000000015494: D3B14080 18030104
	v_pk_mul_f32 v[130:131], v[4:5], v[130:131]                // 00000001549C: D3B14082 18030504
	v_cvt_pk_fp8_f32 v128, v128, v129                          // 0000000154A4: D2A20080 00030380
	v_cvt_pk_fp8_f32 v128, v130, v131 op_sel:[0,0,1]           // 0000000154AC: D2A24080 00030782
	v_pk_mul_f32 v[140:141], v[4:5], v[140:141]                // 0000000154B4: D3B1408C 18031904
	v_pk_mul_f32 v[142:143], v[4:5], v[142:143]                // 0000000154BC: D3B1408E 18031D04
	v_cvt_pk_fp8_f32 v140, v140, v141                          // 0000000154C4: D2A2008C 00031B8C
	v_cvt_pk_fp8_f32 v140, v142, v143 op_sel:[0,0,1]           // 0000000154CC: D2A2408C 00031F8E
	v_rcp_f32_e32 v161, v161                                   // 0000000154D4: 7F4245A1
	v_mov_b32_e32 v153, 0x358637bd                             // 0000000154D8: 7F3202FF 358637BD
	v_max3_f32 v153, |v60|, |v61|, v153                        // 0000000154E0: D1D30399 06667B3C
	v_max3_f32 v153, |v62|, |v63|, v153                        // 0000000154E8: D1D30399 06667F3E
	v_max3_f32 v153, |v72|, |v73|, v153                        // 0000000154F0: D1D30399 06669348
	v_max3_f32 v153, |v74|, |v75|, v153                        // 0000000154F8: D1D30399 0666974A
	ds_write_b32 v164, v153                                    // 000000015500: D81A0000 000099A4
	s_waitcnt lgkmcnt(0)                                       // 000000015508: BF8CC07F
	s_barrier                                                  // 00000001550C: BF8A0000
	ds_read_b32 v4, v165                                       // 000000015510: D86C0000 040000A5
	ds_read_b32 v5, v165 offset:64                             // 000000015518: D86C0040 050000A5
	ds_read_b32 v6, v165 offset:128                            // 000000015520: D86C0080 060000A5
	ds_read_b32 v7, v165 offset:192                            // 000000015528: D86C00C0 070000A5
	ds_read_b32 v8, v165 offset:256                            // 000000015530: D86C0100 080000A5
	ds_read_b32 v9, v165 offset:320                            // 000000015538: D86C0140 090000A5
	ds_read_b32 v10, v165 offset:384                           // 000000015540: D86C0180 0A0000A5
	ds_read_b32 v11, v165 offset:448                           // 000000015548: D86C01C0 0B0000A5
	ds_read_b32 v12, v165 offset:512                           // 000000015550: D86C0200 0C0000A5
	ds_read_b32 v13, v165 offset:576                           // 000000015558: D86C0240 0D0000A5
	ds_read_b32 v14, v165 offset:640                           // 000000015560: D86C0280 0E0000A5
	ds_read_b32 v15, v165 offset:704                           // 000000015568: D86C02C0 0F0000A5
	ds_read_b32 v16, v165 offset:768                           // 000000015570: D86C0300 100000A5
	ds_read_b32 v17, v165 offset:832                           // 000000015578: D86C0340 110000A5
	ds_read_b32 v18, v165 offset:896                           // 000000015580: D86C0380 120000A5
	ds_read_b32 v19, v165 offset:960                           // 000000015588: D86C03C0 130000A5
	s_waitcnt lgkmcnt(0)                                       // 000000015590: BF8CC07F
	s_barrier                                                  // 000000015594: BF8A0000
	v_max3_f32 v153, |v4|, |v5|, v153                          // 000000015598: D1D30399 06660B04
	v_max3_f32 v153, |v6|, |v7|, v153                          // 0000000155A0: D1D30399 06660F06
	v_max3_f32 v153, |v8|, |v9|, v153                          // 0000000155A8: D1D30399 06661308
	v_max3_f32 v153, |v10|, |v11|, v153                        // 0000000155B0: D1D30399 0666170A
	v_max3_f32 v153, |v12|, |v13|, v153                        // 0000000155B8: D1D30399 06661B0C
	v_max3_f32 v153, |v14|, |v15|, v153                        // 0000000155C0: D1D30399 06661F0E
	v_max3_f32 v153, |v16|, |v17|, v153                        // 0000000155C8: D1D30399 06662310
	v_max3_f32 v153, |v18|, |v19|, v153                        // 0000000155D0: D1D30399 06662712
	v_rcp_f32_e32 v153, v153                                   // 0000000155D8: 7F324599
	v_mov_b32_e32 v4, 0x43700000                               // 0000000155DC: 7E0802FF 43700000
	v_mul_f32_e32 v153, v4, v153                               // 0000000155E4: 0B333304
	v_mov_b32_e32 v4, v153                                     // 0000000155E8: 7E080399
	v_mov_b32_e32 v5, v4                                       // 0000000155EC: 7E0A0304
	v_pk_mul_f32 v[60:61], v[4:5], v[60:61]                    // 0000000155F0: D3B1403C 18027904
	v_pk_mul_f32 v[62:63], v[4:5], v[62:63]                    // 0000000155F8: D3B1403E 18027D04
	v_cvt_pk_fp8_f32 v60, v60, v61                             // 000000015600: D2A2003C 00027B3C
	v_cvt_pk_fp8_f32 v60, v62, v63 op_sel:[0,0,1]              // 000000015608: D2A2403C 00027F3E
	v_pk_mul_f32 v[72:73], v[4:5], v[72:73]                    // 000000015610: D3B14048 18029104
	v_pk_mul_f32 v[74:75], v[4:5], v[74:75]                    // 000000015618: D3B1404A 18029504
	v_cvt_pk_fp8_f32 v72, v72, v73                             // 000000015620: D2A20048 00029348
	v_cvt_pk_fp8_f32 v72, v74, v75 op_sel:[0,0,1]              // 000000015628: D2A24048 0002974A
	v_rcp_f32_e32 v153, v153                                   // 000000015630: 7F324599
	v_mov_b32_e32 v156, 0x358637bd                             // 000000015634: 7F3802FF 358637BD
	v_max3_f32 v156, |v84|, |v85|, v156                        // 00000001563C: D1D3039C 0672AB54
	v_max3_f32 v156, |v86|, |v87|, v156                        // 000000015644: D1D3039C 0672AF56
	v_max3_f32 v156, |v96|, |v97|, v156                        // 00000001564C: D1D3039C 0672C360
	v_max3_f32 v156, |v98|, |v99|, v156                        // 000000015654: D1D3039C 0672C762
	ds_write_b32 v164, v156                                    // 00000001565C: D81A0000 00009CA4
	s_waitcnt lgkmcnt(0)                                       // 000000015664: BF8CC07F
	s_barrier                                                  // 000000015668: BF8A0000
	ds_read_b32 v4, v165                                       // 00000001566C: D86C0000 040000A5
	ds_read_b32 v5, v165 offset:64                             // 000000015674: D86C0040 050000A5
	ds_read_b32 v6, v165 offset:128                            // 00000001567C: D86C0080 060000A5
	ds_read_b32 v7, v165 offset:192                            // 000000015684: D86C00C0 070000A5
	ds_read_b32 v8, v165 offset:256                            // 00000001568C: D86C0100 080000A5
	ds_read_b32 v9, v165 offset:320                            // 000000015694: D86C0140 090000A5
	ds_read_b32 v10, v165 offset:384                           // 00000001569C: D86C0180 0A0000A5
	ds_read_b32 v11, v165 offset:448                           // 0000000156A4: D86C01C0 0B0000A5
	ds_read_b32 v12, v165 offset:512                           // 0000000156AC: D86C0200 0C0000A5
	ds_read_b32 v13, v165 offset:576                           // 0000000156B4: D86C0240 0D0000A5
	ds_read_b32 v14, v165 offset:640                           // 0000000156BC: D86C0280 0E0000A5
	ds_read_b32 v15, v165 offset:704                           // 0000000156C4: D86C02C0 0F0000A5
	ds_read_b32 v16, v165 offset:768                           // 0000000156CC: D86C0300 100000A5
	ds_read_b32 v17, v165 offset:832                           // 0000000156D4: D86C0340 110000A5
	ds_read_b32 v18, v165 offset:896                           // 0000000156DC: D86C0380 120000A5
	ds_read_b32 v19, v165 offset:960                           // 0000000156E4: D86C03C0 130000A5
	s_waitcnt lgkmcnt(0)                                       // 0000000156EC: BF8CC07F
	s_barrier                                                  // 0000000156F0: BF8A0000
	v_max3_f32 v156, |v4|, |v5|, v156                          // 0000000156F4: D1D3039C 06720B04
	v_max3_f32 v156, |v6|, |v7|, v156                          // 0000000156FC: D1D3039C 06720F06
	v_max3_f32 v156, |v8|, |v9|, v156                          // 000000015704: D1D3039C 06721308
	v_max3_f32 v156, |v10|, |v11|, v156                        // 00000001570C: D1D3039C 0672170A
	v_max3_f32 v156, |v12|, |v13|, v156                        // 000000015714: D1D3039C 06721B0C
	v_max3_f32 v156, |v14|, |v15|, v156                        // 00000001571C: D1D3039C 06721F0E
	v_max3_f32 v156, |v16|, |v17|, v156                        // 000000015724: D1D3039C 06722310
	v_max3_f32 v156, |v18|, |v19|, v156                        // 00000001572C: D1D3039C 06722712
	v_rcp_f32_e32 v156, v156                                   // 000000015734: 7F38459C
	v_mov_b32_e32 v4, 0x43700000                               // 000000015738: 7E0802FF 43700000
	v_mul_f32_e32 v156, v4, v156                               // 000000015740: 0B393904
	v_mov_b32_e32 v4, v156                                     // 000000015744: 7E08039C
	v_mov_b32_e32 v5, v4                                       // 000000015748: 7E0A0304
	v_pk_mul_f32 v[84:85], v[4:5], v[84:85]                    // 00000001574C: D3B14054 1802A904
	v_pk_mul_f32 v[86:87], v[4:5], v[86:87]                    // 000000015754: D3B14056 1802AD04
	v_cvt_pk_fp8_f32 v84, v84, v85                             // 00000001575C: D2A20054 0002AB54
	v_cvt_pk_fp8_f32 v84, v86, v87 op_sel:[0,0,1]              // 000000015764: D2A24054 0002AF56
	v_pk_mul_f32 v[96:97], v[4:5], v[96:97]                    // 00000001576C: D3B14060 1802C104
	v_pk_mul_f32 v[98:99], v[4:5], v[98:99]                    // 000000015774: D3B14062 1802C504
	v_cvt_pk_fp8_f32 v96, v96, v97                             // 00000001577C: D2A20060 0002C360
	v_cvt_pk_fp8_f32 v96, v98, v99 op_sel:[0,0,1]              // 000000015784: D2A24060 0002C762
	v_rcp_f32_e32 v156, v156                                   // 00000001578C: 7F38459C
	v_mov_b32_e32 v159, 0x358637bd                             // 000000015790: 7F3E02FF 358637BD
	v_max3_f32 v159, |v108|, |v109|, v159                      // 000000015798: D1D3039F 067EDB6C
	v_max3_f32 v159, |v110|, |v111|, v159                      // 0000000157A0: D1D3039F 067EDF6E
	v_max3_f32 v159, |v120|, |v121|, v159                      // 0000000157A8: D1D3039F 067EF378
	v_max3_f32 v159, |v122|, |v123|, v159                      // 0000000157B0: D1D3039F 067EF77A
	ds_write_b32 v164, v159                                    // 0000000157B8: D81A0000 00009FA4
	s_waitcnt lgkmcnt(0)                                       // 0000000157C0: BF8CC07F
	s_barrier                                                  // 0000000157C4: BF8A0000
	ds_read_b32 v4, v165                                       // 0000000157C8: D86C0000 040000A5
	ds_read_b32 v5, v165 offset:64                             // 0000000157D0: D86C0040 050000A5
	ds_read_b32 v6, v165 offset:128                            // 0000000157D8: D86C0080 060000A5
	ds_read_b32 v7, v165 offset:192                            // 0000000157E0: D86C00C0 070000A5
	ds_read_b32 v8, v165 offset:256                            // 0000000157E8: D86C0100 080000A5
	ds_read_b32 v9, v165 offset:320                            // 0000000157F0: D86C0140 090000A5
	ds_read_b32 v10, v165 offset:384                           // 0000000157F8: D86C0180 0A0000A5
	ds_read_b32 v11, v165 offset:448                           // 000000015800: D86C01C0 0B0000A5
	ds_read_b32 v12, v165 offset:512                           // 000000015808: D86C0200 0C0000A5
	ds_read_b32 v13, v165 offset:576                           // 000000015810: D86C0240 0D0000A5
	ds_read_b32 v14, v165 offset:640                           // 000000015818: D86C0280 0E0000A5
	ds_read_b32 v15, v165 offset:704                           // 000000015820: D86C02C0 0F0000A5
	ds_read_b32 v16, v165 offset:768                           // 000000015828: D86C0300 100000A5
	ds_read_b32 v17, v165 offset:832                           // 000000015830: D86C0340 110000A5
	ds_read_b32 v18, v165 offset:896                           // 000000015838: D86C0380 120000A5
	ds_read_b32 v19, v165 offset:960                           // 000000015840: D86C03C0 130000A5
	s_waitcnt lgkmcnt(0)                                       // 000000015848: BF8CC07F
	s_barrier                                                  // 00000001584C: BF8A0000
	v_max3_f32 v159, |v4|, |v5|, v159                          // 000000015850: D1D3039F 067E0B04
	v_max3_f32 v159, |v6|, |v7|, v159                          // 000000015858: D1D3039F 067E0F06
	v_max3_f32 v159, |v8|, |v9|, v159                          // 000000015860: D1D3039F 067E1308
	v_max3_f32 v159, |v10|, |v11|, v159                        // 000000015868: D1D3039F 067E170A
	v_max3_f32 v159, |v12|, |v13|, v159                        // 000000015870: D1D3039F 067E1B0C
	v_max3_f32 v159, |v14|, |v15|, v159                        // 000000015878: D1D3039F 067E1F0E
	v_max3_f32 v159, |v16|, |v17|, v159                        // 000000015880: D1D3039F 067E2310
	v_max3_f32 v159, |v18|, |v19|, v159                        // 000000015888: D1D3039F 067E2712
	v_rcp_f32_e32 v159, v159                                   // 000000015890: 7F3E459F
	v_mov_b32_e32 v4, 0x43700000                               // 000000015894: 7E0802FF 43700000
	v_mul_f32_e32 v159, v4, v159                               // 00000001589C: 0B3F3F04
	v_mov_b32_e32 v4, v159                                     // 0000000158A0: 7E08039F
	v_mov_b32_e32 v5, v4                                       // 0000000158A4: 7E0A0304
	v_pk_mul_f32 v[108:109], v[4:5], v[108:109]                // 0000000158A8: D3B1406C 1802D904
	v_pk_mul_f32 v[110:111], v[4:5], v[110:111]                // 0000000158B0: D3B1406E 1802DD04
	v_cvt_pk_fp8_f32 v108, v108, v109                          // 0000000158B8: D2A2006C 0002DB6C
	v_cvt_pk_fp8_f32 v108, v110, v111 op_sel:[0,0,1]           // 0000000158C0: D2A2406C 0002DF6E
	v_pk_mul_f32 v[120:121], v[4:5], v[120:121]                // 0000000158C8: D3B14078 1802F104
	v_pk_mul_f32 v[122:123], v[4:5], v[122:123]                // 0000000158D0: D3B1407A 1802F504
	v_cvt_pk_fp8_f32 v120, v120, v121                          // 0000000158D8: D2A20078 0002F378
	v_cvt_pk_fp8_f32 v120, v122, v123 op_sel:[0,0,1]           // 0000000158E0: D2A24078 0002F77A
	v_rcp_f32_e32 v159, v159                                   // 0000000158E8: 7F3E459F
	v_mov_b32_e32 v162, 0x358637bd                             // 0000000158EC: 7F4402FF 358637BD
	v_max3_f32 v162, |v132|, |v133|, v162                      // 0000000158F4: D1D303A2 068B0B84
	v_max3_f32 v162, |v134|, |v135|, v162                      // 0000000158FC: D1D303A2 068B0F86
	v_max3_f32 v162, |v144|, |v145|, v162                      // 000000015904: D1D303A2 068B2390
	v_max3_f32 v162, |v146|, |v147|, v162                      // 00000001590C: D1D303A2 068B2792
	ds_write_b32 v164, v162                                    // 000000015914: D81A0000 0000A2A4
	s_waitcnt lgkmcnt(0)                                       // 00000001591C: BF8CC07F
	s_barrier                                                  // 000000015920: BF8A0000
	ds_read_b32 v4, v165                                       // 000000015924: D86C0000 040000A5
	ds_read_b32 v5, v165 offset:64                             // 00000001592C: D86C0040 050000A5
	ds_read_b32 v6, v165 offset:128                            // 000000015934: D86C0080 060000A5
	ds_read_b32 v7, v165 offset:192                            // 00000001593C: D86C00C0 070000A5
	ds_read_b32 v8, v165 offset:256                            // 000000015944: D86C0100 080000A5
	ds_read_b32 v9, v165 offset:320                            // 00000001594C: D86C0140 090000A5
	ds_read_b32 v10, v165 offset:384                           // 000000015954: D86C0180 0A0000A5
	ds_read_b32 v11, v165 offset:448                           // 00000001595C: D86C01C0 0B0000A5
	ds_read_b32 v12, v165 offset:512                           // 000000015964: D86C0200 0C0000A5
	ds_read_b32 v13, v165 offset:576                           // 00000001596C: D86C0240 0D0000A5
	ds_read_b32 v14, v165 offset:640                           // 000000015974: D86C0280 0E0000A5
	ds_read_b32 v15, v165 offset:704                           // 00000001597C: D86C02C0 0F0000A5
	ds_read_b32 v16, v165 offset:768                           // 000000015984: D86C0300 100000A5
	ds_read_b32 v17, v165 offset:832                           // 00000001598C: D86C0340 110000A5
	ds_read_b32 v18, v165 offset:896                           // 000000015994: D86C0380 120000A5
	ds_read_b32 v19, v165 offset:960                           // 00000001599C: D86C03C0 130000A5
	s_waitcnt lgkmcnt(0)                                       // 0000000159A4: BF8CC07F
	s_barrier                                                  // 0000000159A8: BF8A0000
	v_max3_f32 v162, |v4|, |v5|, v162                          // 0000000159AC: D1D303A2 068A0B04
	v_max3_f32 v162, |v6|, |v7|, v162                          // 0000000159B4: D1D303A2 068A0F06
	v_max3_f32 v162, |v8|, |v9|, v162                          // 0000000159BC: D1D303A2 068A1308
	v_max3_f32 v162, |v10|, |v11|, v162                        // 0000000159C4: D1D303A2 068A170A
	v_max3_f32 v162, |v12|, |v13|, v162                        // 0000000159CC: D1D303A2 068A1B0C
	v_max3_f32 v162, |v14|, |v15|, v162                        // 0000000159D4: D1D303A2 068A1F0E
	v_max3_f32 v162, |v16|, |v17|, v162                        // 0000000159DC: D1D303A2 068A2310
	v_max3_f32 v162, |v18|, |v19|, v162                        // 0000000159E4: D1D303A2 068A2712
	v_rcp_f32_e32 v162, v162                                   // 0000000159EC: 7F4445A2
	v_mov_b32_e32 v4, 0x43700000                               // 0000000159F0: 7E0802FF 43700000
	v_mul_f32_e32 v162, v4, v162                               // 0000000159F8: 0B454504
	v_mov_b32_e32 v4, v162                                     // 0000000159FC: 7E0803A2
	v_mov_b32_e32 v5, v4                                       // 000000015A00: 7E0A0304
	v_pk_mul_f32 v[132:133], v[4:5], v[132:133]                // 000000015A04: D3B14084 18030904
	v_pk_mul_f32 v[134:135], v[4:5], v[134:135]                // 000000015A0C: D3B14086 18030D04
	v_cvt_pk_fp8_f32 v132, v132, v133                          // 000000015A14: D2A20084 00030B84
	v_cvt_pk_fp8_f32 v132, v134, v135 op_sel:[0,0,1]           // 000000015A1C: D2A24084 00030F86
	v_pk_mul_f32 v[144:145], v[4:5], v[144:145]                // 000000015A24: D3B14090 18032104
	v_pk_mul_f32 v[146:147], v[4:5], v[146:147]                // 000000015A2C: D3B14092 18032504
	v_cvt_pk_fp8_f32 v144, v144, v145                          // 000000015A34: D2A20090 00032390
	v_cvt_pk_fp8_f32 v144, v146, v147 op_sel:[0,0,1]           // 000000015A3C: D2A24090 00032792
	v_rcp_f32_e32 v162, v162                                   // 000000015A44: 7F4445A2
	v_mov_b32_e32 v154, 0x358637bd                             // 000000015A48: 7F3402FF 358637BD
	v_max3_f32 v154, |v64|, |v65|, v154                        // 000000015A50: D1D3039A 066A8340
	v_max3_f32 v154, |v66|, |v67|, v154                        // 000000015A58: D1D3039A 066A8742
	v_max3_f32 v154, |v76|, |v77|, v154                        // 000000015A60: D1D3039A 066A9B4C
	v_max3_f32 v154, |v78|, |v79|, v154                        // 000000015A68: D1D3039A 066A9F4E
	ds_write_b32 v164, v154                                    // 000000015A70: D81A0000 00009AA4
	s_waitcnt lgkmcnt(0)                                       // 000000015A78: BF8CC07F
	s_barrier                                                  // 000000015A7C: BF8A0000
	ds_read_b32 v4, v165                                       // 000000015A80: D86C0000 040000A5
	ds_read_b32 v5, v165 offset:64                             // 000000015A88: D86C0040 050000A5
	ds_read_b32 v6, v165 offset:128                            // 000000015A90: D86C0080 060000A5
	ds_read_b32 v7, v165 offset:192                            // 000000015A98: D86C00C0 070000A5
	ds_read_b32 v8, v165 offset:256                            // 000000015AA0: D86C0100 080000A5
	ds_read_b32 v9, v165 offset:320                            // 000000015AA8: D86C0140 090000A5
	ds_read_b32 v10, v165 offset:384                           // 000000015AB0: D86C0180 0A0000A5
	ds_read_b32 v11, v165 offset:448                           // 000000015AB8: D86C01C0 0B0000A5
	ds_read_b32 v12, v165 offset:512                           // 000000015AC0: D86C0200 0C0000A5
	ds_read_b32 v13, v165 offset:576                           // 000000015AC8: D86C0240 0D0000A5
	ds_read_b32 v14, v165 offset:640                           // 000000015AD0: D86C0280 0E0000A5
	ds_read_b32 v15, v165 offset:704                           // 000000015AD8: D86C02C0 0F0000A5
	ds_read_b32 v16, v165 offset:768                           // 000000015AE0: D86C0300 100000A5
	ds_read_b32 v17, v165 offset:832                           // 000000015AE8: D86C0340 110000A5
	ds_read_b32 v18, v165 offset:896                           // 000000015AF0: D86C0380 120000A5
	ds_read_b32 v19, v165 offset:960                           // 000000015AF8: D86C03C0 130000A5
	s_waitcnt lgkmcnt(0)                                       // 000000015B00: BF8CC07F
	s_barrier                                                  // 000000015B04: BF8A0000
	v_max3_f32 v154, |v4|, |v5|, v154                          // 000000015B08: D1D3039A 066A0B04
	v_max3_f32 v154, |v6|, |v7|, v154                          // 000000015B10: D1D3039A 066A0F06
	v_max3_f32 v154, |v8|, |v9|, v154                          // 000000015B18: D1D3039A 066A1308
	v_max3_f32 v154, |v10|, |v11|, v154                        // 000000015B20: D1D3039A 066A170A
	v_max3_f32 v154, |v12|, |v13|, v154                        // 000000015B28: D1D3039A 066A1B0C
	v_max3_f32 v154, |v14|, |v15|, v154                        // 000000015B30: D1D3039A 066A1F0E
	v_max3_f32 v154, |v16|, |v17|, v154                        // 000000015B38: D1D3039A 066A2310
	v_max3_f32 v154, |v18|, |v19|, v154                        // 000000015B40: D1D3039A 066A2712
	v_rcp_f32_e32 v154, v154                                   // 000000015B48: 7F34459A
	v_mov_b32_e32 v4, 0x43700000                               // 000000015B4C: 7E0802FF 43700000
	v_mul_f32_e32 v154, v4, v154                               // 000000015B54: 0B353504
	v_mov_b32_e32 v4, v154                                     // 000000015B58: 7E08039A
	v_mov_b32_e32 v5, v4                                       // 000000015B5C: 7E0A0304
	v_pk_mul_f32 v[64:65], v[4:5], v[64:65]                    // 000000015B60: D3B14040 18028104
	v_pk_mul_f32 v[66:67], v[4:5], v[66:67]                    // 000000015B68: D3B14042 18028504
	v_cvt_pk_fp8_f32 v64, v64, v65                             // 000000015B70: D2A20040 00028340
	v_cvt_pk_fp8_f32 v64, v66, v67 op_sel:[0,0,1]              // 000000015B78: D2A24040 00028742
	v_pk_mul_f32 v[76:77], v[4:5], v[76:77]                    // 000000015B80: D3B1404C 18029904
	v_pk_mul_f32 v[78:79], v[4:5], v[78:79]                    // 000000015B88: D3B1404E 18029D04
	v_cvt_pk_fp8_f32 v76, v76, v77                             // 000000015B90: D2A2004C 00029B4C
	v_cvt_pk_fp8_f32 v76, v78, v79 op_sel:[0,0,1]              // 000000015B98: D2A2404C 00029F4E
	v_rcp_f32_e32 v154, v154                                   // 000000015BA0: 7F34459A
	v_mov_b32_e32 v157, 0x358637bd                             // 000000015BA4: 7F3A02FF 358637BD
	v_max3_f32 v157, |v88|, |v89|, v157                        // 000000015BAC: D1D3039D 0676B358
	v_max3_f32 v157, |v90|, |v91|, v157                        // 000000015BB4: D1D3039D 0676B75A
	v_max3_f32 v157, |v100|, |v101|, v157                      // 000000015BBC: D1D3039D 0676CB64
	v_max3_f32 v157, |v102|, |v103|, v157                      // 000000015BC4: D1D3039D 0676CF66
	ds_write_b32 v164, v157                                    // 000000015BCC: D81A0000 00009DA4
	s_waitcnt lgkmcnt(0)                                       // 000000015BD4: BF8CC07F
	s_barrier                                                  // 000000015BD8: BF8A0000
	ds_read_b32 v4, v165                                       // 000000015BDC: D86C0000 040000A5
	ds_read_b32 v5, v165 offset:64                             // 000000015BE4: D86C0040 050000A5
	ds_read_b32 v6, v165 offset:128                            // 000000015BEC: D86C0080 060000A5
	ds_read_b32 v7, v165 offset:192                            // 000000015BF4: D86C00C0 070000A5
	ds_read_b32 v8, v165 offset:256                            // 000000015BFC: D86C0100 080000A5
	ds_read_b32 v9, v165 offset:320                            // 000000015C04: D86C0140 090000A5
	ds_read_b32 v10, v165 offset:384                           // 000000015C0C: D86C0180 0A0000A5
	ds_read_b32 v11, v165 offset:448                           // 000000015C14: D86C01C0 0B0000A5
	ds_read_b32 v12, v165 offset:512                           // 000000015C1C: D86C0200 0C0000A5
	ds_read_b32 v13, v165 offset:576                           // 000000015C24: D86C0240 0D0000A5
	ds_read_b32 v14, v165 offset:640                           // 000000015C2C: D86C0280 0E0000A5
	ds_read_b32 v15, v165 offset:704                           // 000000015C34: D86C02C0 0F0000A5
	ds_read_b32 v16, v165 offset:768                           // 000000015C3C: D86C0300 100000A5
	ds_read_b32 v17, v165 offset:832                           // 000000015C44: D86C0340 110000A5
	ds_read_b32 v18, v165 offset:896                           // 000000015C4C: D86C0380 120000A5
	ds_read_b32 v19, v165 offset:960                           // 000000015C54: D86C03C0 130000A5
	s_waitcnt lgkmcnt(0)                                       // 000000015C5C: BF8CC07F
	s_barrier                                                  // 000000015C60: BF8A0000
	v_max3_f32 v157, |v4|, |v5|, v157                          // 000000015C64: D1D3039D 06760B04
	v_max3_f32 v157, |v6|, |v7|, v157                          // 000000015C6C: D1D3039D 06760F06
	v_max3_f32 v157, |v8|, |v9|, v157                          // 000000015C74: D1D3039D 06761308
	v_max3_f32 v157, |v10|, |v11|, v157                        // 000000015C7C: D1D3039D 0676170A
	v_max3_f32 v157, |v12|, |v13|, v157                        // 000000015C84: D1D3039D 06761B0C
	v_max3_f32 v157, |v14|, |v15|, v157                        // 000000015C8C: D1D3039D 06761F0E
	v_max3_f32 v157, |v16|, |v17|, v157                        // 000000015C94: D1D3039D 06762310
	v_max3_f32 v157, |v18|, |v19|, v157                        // 000000015C9C: D1D3039D 06762712
	v_rcp_f32_e32 v157, v157                                   // 000000015CA4: 7F3A459D
	v_mov_b32_e32 v4, 0x43700000                               // 000000015CA8: 7E0802FF 43700000
	v_mul_f32_e32 v157, v4, v157                               // 000000015CB0: 0B3B3B04
	v_mov_b32_e32 v4, v157                                     // 000000015CB4: 7E08039D
	v_mov_b32_e32 v5, v4                                       // 000000015CB8: 7E0A0304
	v_pk_mul_f32 v[88:89], v[4:5], v[88:89]                    // 000000015CBC: D3B14058 1802B104
	v_pk_mul_f32 v[90:91], v[4:5], v[90:91]                    // 000000015CC4: D3B1405A 1802B504
	v_cvt_pk_fp8_f32 v88, v88, v89                             // 000000015CCC: D2A20058 0002B358
	v_cvt_pk_fp8_f32 v88, v90, v91 op_sel:[0,0,1]              // 000000015CD4: D2A24058 0002B75A
	v_pk_mul_f32 v[100:101], v[4:5], v[100:101]                // 000000015CDC: D3B14064 1802C904
	v_pk_mul_f32 v[102:103], v[4:5], v[102:103]                // 000000015CE4: D3B14066 1802CD04
	v_cvt_pk_fp8_f32 v100, v100, v101                          // 000000015CEC: D2A20064 0002CB64
	v_cvt_pk_fp8_f32 v100, v102, v103 op_sel:[0,0,1]           // 000000015CF4: D2A24064 0002CF66
	v_rcp_f32_e32 v157, v157                                   // 000000015CFC: 7F3A459D
	v_mov_b32_e32 v160, 0x358637bd                             // 000000015D00: 7F4002FF 358637BD
	v_max3_f32 v160, |v112|, |v113|, v160                      // 000000015D08: D1D303A0 0682E370
	v_max3_f32 v160, |v114|, |v115|, v160                      // 000000015D10: D1D303A0 0682E772
	v_max3_f32 v160, |v124|, |v125|, v160                      // 000000015D18: D1D303A0 0682FB7C
	v_max3_f32 v160, |v126|, |v127|, v160                      // 000000015D20: D1D303A0 0682FF7E
	ds_write_b32 v164, v160                                    // 000000015D28: D81A0000 0000A0A4
	s_waitcnt lgkmcnt(0)                                       // 000000015D30: BF8CC07F
	s_barrier                                                  // 000000015D34: BF8A0000
	ds_read_b32 v4, v165                                       // 000000015D38: D86C0000 040000A5
	ds_read_b32 v5, v165 offset:64                             // 000000015D40: D86C0040 050000A5
	ds_read_b32 v6, v165 offset:128                            // 000000015D48: D86C0080 060000A5
	ds_read_b32 v7, v165 offset:192                            // 000000015D50: D86C00C0 070000A5
	ds_read_b32 v8, v165 offset:256                            // 000000015D58: D86C0100 080000A5
	ds_read_b32 v9, v165 offset:320                            // 000000015D60: D86C0140 090000A5
	ds_read_b32 v10, v165 offset:384                           // 000000015D68: D86C0180 0A0000A5
	ds_read_b32 v11, v165 offset:448                           // 000000015D70: D86C01C0 0B0000A5
	ds_read_b32 v12, v165 offset:512                           // 000000015D78: D86C0200 0C0000A5
	ds_read_b32 v13, v165 offset:576                           // 000000015D80: D86C0240 0D0000A5
	ds_read_b32 v14, v165 offset:640                           // 000000015D88: D86C0280 0E0000A5
	ds_read_b32 v15, v165 offset:704                           // 000000015D90: D86C02C0 0F0000A5
	ds_read_b32 v16, v165 offset:768                           // 000000015D98: D86C0300 100000A5
	ds_read_b32 v17, v165 offset:832                           // 000000015DA0: D86C0340 110000A5
	ds_read_b32 v18, v165 offset:896                           // 000000015DA8: D86C0380 120000A5
	ds_read_b32 v19, v165 offset:960                           // 000000015DB0: D86C03C0 130000A5
	s_waitcnt lgkmcnt(0)                                       // 000000015DB8: BF8CC07F
	s_barrier                                                  // 000000015DBC: BF8A0000
	v_max3_f32 v160, |v4|, |v5|, v160                          // 000000015DC0: D1D303A0 06820B04
	v_max3_f32 v160, |v6|, |v7|, v160                          // 000000015DC8: D1D303A0 06820F06
	v_max3_f32 v160, |v8|, |v9|, v160                          // 000000015DD0: D1D303A0 06821308
	v_max3_f32 v160, |v10|, |v11|, v160                        // 000000015DD8: D1D303A0 0682170A
	v_max3_f32 v160, |v12|, |v13|, v160                        // 000000015DE0: D1D303A0 06821B0C
	v_max3_f32 v160, |v14|, |v15|, v160                        // 000000015DE8: D1D303A0 06821F0E
	v_max3_f32 v160, |v16|, |v17|, v160                        // 000000015DF0: D1D303A0 06822310
	v_max3_f32 v160, |v18|, |v19|, v160                        // 000000015DF8: D1D303A0 06822712
	v_rcp_f32_e32 v160, v160                                   // 000000015E00: 7F4045A0
	v_mov_b32_e32 v4, 0x43700000                               // 000000015E04: 7E0802FF 43700000
	v_mul_f32_e32 v160, v4, v160                               // 000000015E0C: 0B414104
	v_mov_b32_e32 v4, v160                                     // 000000015E10: 7E0803A0
	v_mov_b32_e32 v5, v4                                       // 000000015E14: 7E0A0304
	v_pk_mul_f32 v[112:113], v[4:5], v[112:113]                // 000000015E18: D3B14070 1802E104
	v_pk_mul_f32 v[114:115], v[4:5], v[114:115]                // 000000015E20: D3B14072 1802E504
	v_cvt_pk_fp8_f32 v112, v112, v113                          // 000000015E28: D2A20070 0002E370
	v_cvt_pk_fp8_f32 v112, v114, v115 op_sel:[0,0,1]           // 000000015E30: D2A24070 0002E772
	v_pk_mul_f32 v[124:125], v[4:5], v[124:125]                // 000000015E38: D3B1407C 1802F904
	v_pk_mul_f32 v[126:127], v[4:5], v[126:127]                // 000000015E40: D3B1407E 1802FD04
	v_cvt_pk_fp8_f32 v124, v124, v125                          // 000000015E48: D2A2007C 0002FB7C
	v_cvt_pk_fp8_f32 v124, v126, v127 op_sel:[0,0,1]           // 000000015E50: D2A2407C 0002FF7E
	v_rcp_f32_e32 v160, v160                                   // 000000015E58: 7F4045A0
	v_mov_b32_e32 v163, 0x358637bd                             // 000000015E5C: 7F4602FF 358637BD
	v_max3_f32 v163, |v136|, |v137|, v163                      // 000000015E64: D1D303A3 068F1388
	v_max3_f32 v163, |v138|, |v139|, v163                      // 000000015E6C: D1D303A3 068F178A
	v_max3_f32 v163, |v148|, |v149|, v163                      // 000000015E74: D1D303A3 068F2B94
	v_max3_f32 v163, |v150|, |v151|, v163                      // 000000015E7C: D1D303A3 068F2F96
	ds_write_b32 v164, v163                                    // 000000015E84: D81A0000 0000A3A4
	s_waitcnt lgkmcnt(0)                                       // 000000015E8C: BF8CC07F
	s_barrier                                                  // 000000015E90: BF8A0000
	ds_read_b32 v4, v165                                       // 000000015E94: D86C0000 040000A5
	ds_read_b32 v5, v165 offset:64                             // 000000015E9C: D86C0040 050000A5
	ds_read_b32 v6, v165 offset:128                            // 000000015EA4: D86C0080 060000A5
	ds_read_b32 v7, v165 offset:192                            // 000000015EAC: D86C00C0 070000A5
	ds_read_b32 v8, v165 offset:256                            // 000000015EB4: D86C0100 080000A5
	ds_read_b32 v9, v165 offset:320                            // 000000015EBC: D86C0140 090000A5
	ds_read_b32 v10, v165 offset:384                           // 000000015EC4: D86C0180 0A0000A5
	ds_read_b32 v11, v165 offset:448                           // 000000015ECC: D86C01C0 0B0000A5
	ds_read_b32 v12, v165 offset:512                           // 000000015ED4: D86C0200 0C0000A5
	ds_read_b32 v13, v165 offset:576                           // 000000015EDC: D86C0240 0D0000A5
	ds_read_b32 v14, v165 offset:640                           // 000000015EE4: D86C0280 0E0000A5
	ds_read_b32 v15, v165 offset:704                           // 000000015EEC: D86C02C0 0F0000A5
	ds_read_b32 v16, v165 offset:768                           // 000000015EF4: D86C0300 100000A5
	ds_read_b32 v17, v165 offset:832                           // 000000015EFC: D86C0340 110000A5
	ds_read_b32 v18, v165 offset:896                           // 000000015F04: D86C0380 120000A5
	ds_read_b32 v19, v165 offset:960                           // 000000015F0C: D86C03C0 130000A5
	s_waitcnt lgkmcnt(0)                                       // 000000015F14: BF8CC07F
	s_barrier                                                  // 000000015F18: BF8A0000
	v_max3_f32 v163, |v4|, |v5|, v163                          // 000000015F1C: D1D303A3 068E0B04
	v_max3_f32 v163, |v6|, |v7|, v163                          // 000000015F24: D1D303A3 068E0F06
	v_max3_f32 v163, |v8|, |v9|, v163                          // 000000015F2C: D1D303A3 068E1308
	v_max3_f32 v163, |v10|, |v11|, v163                        // 000000015F34: D1D303A3 068E170A
	v_max3_f32 v163, |v12|, |v13|, v163                        // 000000015F3C: D1D303A3 068E1B0C
	v_max3_f32 v163, |v14|, |v15|, v163                        // 000000015F44: D1D303A3 068E1F0E
	v_max3_f32 v163, |v16|, |v17|, v163                        // 000000015F4C: D1D303A3 068E2310
	v_max3_f32 v163, |v18|, |v19|, v163                        // 000000015F54: D1D303A3 068E2712
	v_rcp_f32_e32 v163, v163                                   // 000000015F5C: 7F4645A3
	v_mov_b32_e32 v4, 0x43700000                               // 000000015F60: 7E0802FF 43700000
	v_mul_f32_e32 v163, v4, v163                               // 000000015F68: 0B474704
	v_mov_b32_e32 v4, v163                                     // 000000015F6C: 7E0803A3
	v_mov_b32_e32 v5, v4                                       // 000000015F70: 7E0A0304
	v_pk_mul_f32 v[136:137], v[4:5], v[136:137]                // 000000015F74: D3B14088 18031104
	v_pk_mul_f32 v[138:139], v[4:5], v[138:139]                // 000000015F7C: D3B1408A 18031504
	v_cvt_pk_fp8_f32 v136, v136, v137                          // 000000015F84: D2A20088 00031388
	v_cvt_pk_fp8_f32 v136, v138, v139 op_sel:[0,0,1]           // 000000015F8C: D2A24088 0003178A
	v_pk_mul_f32 v[148:149], v[4:5], v[148:149]                // 000000015F94: D3B14094 18032904
	v_pk_mul_f32 v[150:151], v[4:5], v[150:151]                // 000000015F9C: D3B14096 18032D04
	v_cvt_pk_fp8_f32 v148, v148, v149                          // 000000015FA4: D2A20094 00032B94
	v_cvt_pk_fp8_f32 v148, v150, v151 op_sel:[0,0,1]           // 000000015FAC: D2A24094 00032F96
	v_rcp_f32_e32 v163, v163                                   // 000000015FB4: 7F4645A3
	v_lshrrev_b32_e32 v4, 5, v0                                // 000000015FB8: 20080085
	v_mul_lo_u32 v20, 34, v4                                   // 000000015FBC: D2850014 000208A2
	v_and_b32_e32 v4, 31, v0                                   // 000000015FC4: 2608009F
	v_lshrrev_b32_e32 v5, 4, v4                                // 000000015FC8: 200A0884
	v_add_u32_e32 v20, v5, v20                                 // 000000015FCC: 68282905
	v_and_b32_e32 v4, 15, v0                                   // 000000015FD0: 2608008F
	v_mul_lo_u32 v5, 2, v4                                     // 000000015FD4: D2850005 00020882
	v_add_u32_e32 v20, v5, v20                                 // 000000015FDC: 68282905
	s_mul_i32 s60, s7, 0x44                                    // 000000015FE0: 923CFF07 00000044
	v_add_u32_e32 v20, s60, v20                                // 000000015FE8: 6828283C
	v_lshlrev_b32_e32 v20, 2, v20                              // 000000015FEC: 24282882
	ds_write_b32 v20, v56                                      // 000000015FF0: D81A0000 00003814
	ds_write_b32 v20, v60 offset:8704                          // 000000015FF8: D81A2200 00003C14
	ds_write_b32 v20, v64 offset:17408                         // 000000016000: D81A4400 00004014
	ds_write_b32 v20, v68 offset:1088                          // 000000016008: D81A0440 00004414
	ds_write_b32 v20, v72 offset:9792                          // 000000016010: D81A2640 00004814
	ds_write_b32 v20, v76 offset:18496                         // 000000016018: D81A4840 00004C14
	ds_write_b32 v20, v80 offset:2176                          // 000000016020: D81A0880 00005014
	ds_write_b32 v20, v84 offset:10880                         // 000000016028: D81A2A80 00005414
	ds_write_b32 v20, v88 offset:19584                         // 000000016030: D81A4C80 00005814
	ds_write_b32 v20, v92 offset:3264                          // 000000016038: D81A0CC0 00005C14
	ds_write_b32 v20, v96 offset:11968                         // 000000016040: D81A2EC0 00006014
	ds_write_b32 v20, v100 offset:20672                        // 000000016048: D81A50C0 00006414
	ds_write_b32 v20, v104 offset:4352                         // 000000016050: D81A1100 00006814
	ds_write_b32 v20, v108 offset:13056                        // 000000016058: D81A3300 00006C14
	ds_write_b32 v20, v112 offset:21760                        // 000000016060: D81A5500 00007014
	ds_write_b32 v20, v116 offset:5440                         // 000000016068: D81A1540 00007414
	ds_write_b32 v20, v120 offset:14144                        // 000000016070: D81A3740 00007814
	ds_write_b32 v20, v124 offset:22848                        // 000000016078: D81A5940 00007C14
	ds_write_b32 v20, v128 offset:6528                         // 000000016080: D81A1980 00008014
	ds_write_b32 v20, v132 offset:15232                        // 000000016088: D81A3B80 00008414
	ds_write_b32 v20, v136 offset:23936                        // 000000016090: D81A5D80 00008814
	ds_write_b32 v20, v140 offset:7616                         // 000000016098: D81A1DC0 00008C14
	ds_write_b32 v20, v144 offset:16320                        // 0000000160A0: D81A3FC0 00009014
	ds_write_b32 v20, v148 offset:25024                        // 0000000160A8: D81A61C0 00009414
	v_lshrrev_b32_e32 v4, 5, v0                                // 0000000160B0: 20080085
	v_xor_b32_e32 v5, 1, v4                                    // 0000000160B4: 2A0A0881
	s_mul_i32 s60, s65, 1                                      // 0000000160B8: 923C8141
	s_cmp_eq_u32 s88, 0                                        // 0000000160BC: BF068058
	s_cselect_b32 s61, 1, 8                                    // 0000000160C0: 853D8881
	s_mul_i32 s60, s61, s60                                    // 0000000160C4: 923C3C3D
	v_readlane_b32 s82, v3, 0                                  // 0000000160C8: D2890052 00010103
	s_lshr_b32 s61, s82, 24                                    // 0000000160D0: 8F3D9852
	s_and_b32 s82, s82, 0xffffff                               // 0000000160D4: 8652FF52 00FFFFFF
	s_mul_i32 s82, s82, s71                                    // 0000000160DC: 92524752
	s_mul_i32 s61, s60, s61                                    // 0000000160E0: 923D3D3C
	s_add_u32 s82, s82, s61                                    // 0000000160E4: 80523D52
	v_mul_lo_u32 v6, v5, s82                                   // 0000000160E8: D2850006 0000A505
	v_readlane_b32 s82, v3, 1                                  // 0000000160F0: D2890052 00010303
	s_lshr_b32 s61, s82, 24                                    // 0000000160F8: 8F3D9852
	s_and_b32 s82, s82, 0xffffff                               // 0000000160FC: 8652FF52 00FFFFFF
	s_mul_i32 s82, s82, s71                                    // 000000016104: 92524752
	s_mul_i32 s61, s60, s61                                    // 000000016108: 923D3D3C
	s_add_u32 s82, s82, s61                                    // 00000001610C: 80523D52
	v_mul_lo_u32 v7, v4, s82                                   // 000000016110: D2850007 0000A504
	v_add_u32_e32 v42, v6, v7                                  // 000000016118: 68540F06
	v_readlane_b32 s82, v3, 2                                  // 00000001611C: D2890052 00010503
	s_lshr_b32 s61, s82, 24                                    // 000000016124: 8F3D9852
	s_and_b32 s82, s82, 0xffffff                               // 000000016128: 8652FF52 00FFFFFF
	s_mul_i32 s82, s82, s71                                    // 000000016130: 92524752
	s_mul_i32 s61, s60, s61                                    // 000000016134: 923D3D3C
	s_add_u32 s82, s82, s61                                    // 000000016138: 80523D52
	v_mul_lo_u32 v6, v5, s82                                   // 00000001613C: D2850006 0000A505
	v_readlane_b32 s82, v3, 3                                  // 000000016144: D2890052 00010703
	s_lshr_b32 s61, s82, 24                                    // 00000001614C: 8F3D9852
	s_and_b32 s82, s82, 0xffffff                               // 000000016150: 8652FF52 00FFFFFF
	s_mul_i32 s82, s82, s71                                    // 000000016158: 92524752
	s_mul_i32 s61, s60, s61                                    // 00000001615C: 923D3D3C
	s_add_u32 s82, s82, s61                                    // 000000016160: 80523D52
	v_mul_lo_u32 v7, v4, s82                                   // 000000016164: D2850007 0000A504
	v_add_u32_e32 v43, v6, v7                                  // 00000001616C: 68560F06
	v_readlane_b32 s82, v3, 4                                  // 000000016170: D2890052 00010903
	s_lshr_b32 s61, s82, 24                                    // 000000016178: 8F3D9852
	s_and_b32 s82, s82, 0xffffff                               // 00000001617C: 8652FF52 00FFFFFF
	s_mul_i32 s82, s82, s71                                    // 000000016184: 92524752
	s_mul_i32 s61, s60, s61                                    // 000000016188: 923D3D3C
	s_add_u32 s82, s82, s61                                    // 00000001618C: 80523D52
	v_mul_lo_u32 v6, v5, s82                                   // 000000016190: D2850006 0000A505
	v_readlane_b32 s82, v3, 5                                  // 000000016198: D2890052 00010B03
	s_lshr_b32 s61, s82, 24                                    // 0000000161A0: 8F3D9852
	s_and_b32 s82, s82, 0xffffff                               // 0000000161A4: 8652FF52 00FFFFFF
	s_mul_i32 s82, s82, s71                                    // 0000000161AC: 92524752
	s_mul_i32 s61, s60, s61                                    // 0000000161B0: 923D3D3C
	s_add_u32 s82, s82, s61                                    // 0000000161B4: 80523D52
	v_mul_lo_u32 v7, v4, s82                                   // 0000000161B8: D2850007 0000A504
	v_add_u32_e32 v44, v6, v7                                  // 0000000161C0: 68580F06
	v_readlane_b32 s82, v3, 6                                  // 0000000161C4: D2890052 00010D03
	s_lshr_b32 s61, s82, 24                                    // 0000000161CC: 8F3D9852
	s_and_b32 s82, s82, 0xffffff                               // 0000000161D0: 8652FF52 00FFFFFF
	s_mul_i32 s82, s82, s71                                    // 0000000161D8: 92524752
	s_mul_i32 s61, s60, s61                                    // 0000000161DC: 923D3D3C
	s_add_u32 s82, s82, s61                                    // 0000000161E0: 80523D52
	v_mul_lo_u32 v6, v5, s82                                   // 0000000161E4: D2850006 0000A505
	v_readlane_b32 s82, v3, 7                                  // 0000000161EC: D2890052 00010F03
	s_lshr_b32 s61, s82, 24                                    // 0000000161F4: 8F3D9852
	s_and_b32 s82, s82, 0xffffff                               // 0000000161F8: 8652FF52 00FFFFFF
	s_mul_i32 s82, s82, s71                                    // 000000016200: 92524752
	s_mul_i32 s61, s60, s61                                    // 000000016204: 923D3D3C
	s_add_u32 s82, s82, s61                                    // 000000016208: 80523D52
	v_mul_lo_u32 v7, v4, s82                                   // 00000001620C: D2850007 0000A504
	v_add_u32_e32 v45, v6, v7                                  // 000000016214: 685A0F06
	v_readlane_b32 s82, v3, 8                                  // 000000016218: D2890052 00011103
	s_lshr_b32 s61, s82, 24                                    // 000000016220: 8F3D9852
	s_and_b32 s82, s82, 0xffffff                               // 000000016224: 8652FF52 00FFFFFF
	s_mul_i32 s82, s82, s71                                    // 00000001622C: 92524752
	s_mul_i32 s61, s60, s61                                    // 000000016230: 923D3D3C
	s_add_u32 s82, s82, s61                                    // 000000016234: 80523D52
	v_mul_lo_u32 v6, v5, s82                                   // 000000016238: D2850006 0000A505
	v_readlane_b32 s82, v3, 9                                  // 000000016240: D2890052 00011303
	s_lshr_b32 s61, s82, 24                                    // 000000016248: 8F3D9852
	s_and_b32 s82, s82, 0xffffff                               // 00000001624C: 8652FF52 00FFFFFF
	s_mul_i32 s82, s82, s71                                    // 000000016254: 92524752
	s_mul_i32 s61, s60, s61                                    // 000000016258: 923D3D3C
	s_add_u32 s82, s82, s61                                    // 00000001625C: 80523D52
	v_mul_lo_u32 v7, v4, s82                                   // 000000016260: D2850007 0000A504
	v_add_u32_e32 v46, v6, v7                                  // 000000016268: 685C0F06
	v_readlane_b32 s82, v3, 10                                 // 00000001626C: D2890052 00011503
	s_lshr_b32 s61, s82, 24                                    // 000000016274: 8F3D9852
	s_and_b32 s82, s82, 0xffffff                               // 000000016278: 8652FF52 00FFFFFF
	s_mul_i32 s82, s82, s71                                    // 000000016280: 92524752
	s_mul_i32 s61, s60, s61                                    // 000000016284: 923D3D3C
	s_add_u32 s82, s82, s61                                    // 000000016288: 80523D52
	v_mul_lo_u32 v6, v5, s82                                   // 00000001628C: D2850006 0000A505
	v_readlane_b32 s82, v3, 11                                 // 000000016294: D2890052 00011703
	s_lshr_b32 s61, s82, 24                                    // 00000001629C: 8F3D9852
	s_and_b32 s82, s82, 0xffffff                               // 0000000162A0: 8652FF52 00FFFFFF
	s_mul_i32 s82, s82, s71                                    // 0000000162A8: 92524752
	s_mul_i32 s61, s60, s61                                    // 0000000162AC: 923D3D3C
	s_add_u32 s82, s82, s61                                    // 0000000162B0: 80523D52
	v_mul_lo_u32 v7, v4, s82                                   // 0000000162B4: D2850007 0000A504
	v_add_u32_e32 v47, v6, v7                                  // 0000000162BC: 685E0F06
	v_and_b32_e32 v4, 31, v0                                   // 0000000162C0: 2608009F
	v_lshrrev_b32_e32 v4, 1, v4                                // 0000000162C4: 20080881
	s_cmp_eq_u32 s88, 0                                        // 0000000162C8: BF068058
	s_cselect_b32 s61, 2, 4                                    // 0000000162CC: 853D8482
	v_mul_lo_u32 v4, v4, s61                                   // 0000000162D0: D2850004 00007B04
	v_and_b32_e64 v5, v0, 1                                    // 0000000162D8: D1130005 00010300
	v_add_u32_e32 v4, v4, v5                                   // 0000000162E0: 68080B04
	v_lshlrev_b32_e32 v4, 2, v4                                // 0000000162E4: 24080882
	v_add_u32_e32 v42, v42, v4                                 // 0000000162E8: 6854092A
	v_add_u32_e32 v43, v43, v4                                 // 0000000162EC: 6856092B
	v_add_u32_e32 v44, v44, v4                                 // 0000000162F0: 6858092C
	v_add_u32_e32 v45, v45, v4                                 // 0000000162F4: 685A092D
	v_add_u32_e32 v46, v46, v4                                 // 0000000162F8: 685C092E
	v_add_u32_e32 v47, v47, v4                                 // 0000000162FC: 685E092F
	s_waitcnt lgkmcnt(0)                                       // 000000016300: BF8CC07F
	s_barrier                                                  // 000000016304: BF8A0000
	ds_read_b32 v56, v21                                       // 000000016308: D86C0000 38000015
	ds_read_b32 v57, v21 offset:64                             // 000000016310: D86C0040 39000015
	ds_read_b32 v58, v21 offset:2176                           // 000000016318: D86C0880 3A000015
	ds_read_b32 v59, v21 offset:2240                           // 000000016320: D86C08C0 3B000015
	ds_read_b32 v60, v21 offset:4352                           // 000000016328: D86C1100 3C000015
	ds_read_b32 v61, v21 offset:4416                           // 000000016330: D86C1140 3D000015
	ds_read_b32 v62, v21 offset:6528                           // 000000016338: D86C1980 3E000015
	ds_read_b32 v63, v21 offset:6592                           // 000000016340: D86C19C0 3F000015
	ds_read_b32 v64, v21 offset:8704                           // 000000016348: D86C2200 40000015
	ds_read_b32 v65, v21 offset:8768                           // 000000016350: D86C2240 41000015
	ds_read_b32 v66, v21 offset:10880                          // 000000016358: D86C2A80 42000015
	ds_read_b32 v67, v21 offset:10944                          // 000000016360: D86C2AC0 43000015
	ds_read_b32 v68, v21 offset:13056                          // 000000016368: D86C3300 44000015
	ds_read_b32 v69, v21 offset:13120                          // 000000016370: D86C3340 45000015
	ds_read_b32 v70, v21 offset:15232                          // 000000016378: D86C3B80 46000015
	ds_read_b32 v71, v21 offset:15296                          // 000000016380: D86C3BC0 47000015
	ds_read_b32 v72, v21 offset:17408                          // 000000016388: D86C4400 48000015
	ds_read_b32 v73, v21 offset:17472                          // 000000016390: D86C4440 49000015
	ds_read_b32 v74, v21 offset:19584                          // 000000016398: D86C4C80 4A000015
	ds_read_b32 v75, v21 offset:19648                          // 0000000163A0: D86C4CC0 4B000015
	ds_read_b32 v76, v21 offset:21760                          // 0000000163A8: D86C5500 4C000015
	ds_read_b32 v77, v21 offset:21824                          // 0000000163B0: D86C5540 4D000015
	ds_read_b32 v78, v21 offset:23936                          // 0000000163B8: D86C5D80 4E000015
	ds_read_b32 v79, v21 offset:24000                          // 0000000163C0: D86C5DC0 4F000015
	s_waitcnt lgkmcnt(0)                                       // 0000000163C8: BF8CC07F
	s_mov_b32 s36, -1                                          // 0000000163CC: BEA400C1
	s_mov_b32 s37, -1                                          // 0000000163D0: BEA500C1
	v_mov_b32_e32 v7, 0                                        // 0000000163D4: 7E0E0280
	s_or_b32 s9, s9, 0x40000                                   // 0000000163D8: 8709FF09 00040000
	s_mov_b64 exec, s[36:37]                                   // 0000000163E0: BEFE0124
	v_mov_b32_e32 v6, v42                                      // 0000000163E4: 7E0C032A
	s_mov_b64 s[60:61], 0                                      // 0000000163E8: BEBC0180
	v_readlane_b32 s82, v3, 0                                  // 0000000163EC: D2890052 00010103
	s_and_b32 s82, s82, 0xffffff                               // 0000000163F4: 8652FF52 00FFFFFF
	s_cmp_lt_u32 s82, s66                                      // 0000000163FC: BF0A4252
	s_cselect_b32 s20, s36, s60                                // 000000016400: 85143C24
	v_readlane_b32 s82, v3, 1                                  // 000000016404: D2890052 00010303
	s_and_b32 s82, s82, 0xffffff                               // 00000001640C: 8652FF52 00FFFFFF
	s_cmp_lt_u32 s82, s66                                      // 000000016414: BF0A4252
	s_cselect_b32 s21, s36, s60                                // 000000016418: 85153C24
	s_mov_b64 exec, s[20:21]                                   // 00000001641C: BEFE0114
	buffer_store_dword v56, v6, s[8:11], 0 offen               // 000000016420: E0701000 80023806
	buffer_store_dword v58, v6, s[8:11], 0 offen offset:128    // 000000016428: E0701080 80023A06
	buffer_store_dword v60, v6, s[8:11], 0 offen offset:256    // 000000016430: E0701100 80023C06
	buffer_store_dword v62, v6, s[8:11], 0 offen offset:384    // 000000016438: E0701180 80023E06
	s_mov_b64 exec, s[36:37]                                   // 000000016440: BEFE0124
	v_mov_b32_e32 v6, v43                                      // 000000016444: 7E0C032B
	s_mov_b64 s[60:61], 0                                      // 000000016448: BEBC0180
	v_readlane_b32 s82, v3, 2                                  // 00000001644C: D2890052 00010503
	s_and_b32 s82, s82, 0xffffff                               // 000000016454: 8652FF52 00FFFFFF
	s_cmp_lt_u32 s82, s66                                      // 00000001645C: BF0A4252
	s_cselect_b32 s20, s36, s60                                // 000000016460: 85143C24
	v_readlane_b32 s82, v3, 3                                  // 000000016464: D2890052 00010703
	s_and_b32 s82, s82, 0xffffff                               // 00000001646C: 8652FF52 00FFFFFF
	s_cmp_lt_u32 s82, s66                                      // 000000016474: BF0A4252
	s_cselect_b32 s21, s36, s60                                // 000000016478: 85153C24
	s_mov_b64 exec, s[20:21]                                   // 00000001647C: BEFE0114
	buffer_store_dword v57, v6, s[8:11], 0 offen               // 000000016480: E0701000 80023906
	buffer_store_dword v59, v6, s[8:11], 0 offen offset:128    // 000000016488: E0701080 80023B06
	buffer_store_dword v61, v6, s[8:11], 0 offen offset:256    // 000000016490: E0701100 80023D06
	buffer_store_dword v63, v6, s[8:11], 0 offen offset:384    // 000000016498: E0701180 80023F06
	s_mov_b64 exec, s[36:37]                                   // 0000000164A0: BEFE0124
	v_mov_b32_e32 v6, v44                                      // 0000000164A4: 7E0C032C
	s_mov_b64 s[60:61], 0                                      // 0000000164A8: BEBC0180
	v_readlane_b32 s82, v3, 4                                  // 0000000164AC: D2890052 00010903
	s_and_b32 s82, s82, 0xffffff                               // 0000000164B4: 8652FF52 00FFFFFF
	s_cmp_lt_u32 s82, s66                                      // 0000000164BC: BF0A4252
	s_cselect_b32 s20, s36, s60                                // 0000000164C0: 85143C24
	v_readlane_b32 s82, v3, 5                                  // 0000000164C4: D2890052 00010B03
	s_and_b32 s82, s82, 0xffffff                               // 0000000164CC: 8652FF52 00FFFFFF
	s_cmp_lt_u32 s82, s66                                      // 0000000164D4: BF0A4252
	s_cselect_b32 s21, s36, s60                                // 0000000164D8: 85153C24
	s_mov_b64 exec, s[20:21]                                   // 0000000164DC: BEFE0114
	buffer_store_dword v64, v6, s[8:11], 0 offen               // 0000000164E0: E0701000 80024006
	buffer_store_dword v66, v6, s[8:11], 0 offen offset:128    // 0000000164E8: E0701080 80024206
	buffer_store_dword v68, v6, s[8:11], 0 offen offset:256    // 0000000164F0: E0701100 80024406
	buffer_store_dword v70, v6, s[8:11], 0 offen offset:384    // 0000000164F8: E0701180 80024606
	s_mov_b64 exec, s[36:37]                                   // 000000016500: BEFE0124
	v_mov_b32_e32 v6, v45                                      // 000000016504: 7E0C032D
	s_mov_b64 s[60:61], 0                                      // 000000016508: BEBC0180
	v_readlane_b32 s82, v3, 6                                  // 00000001650C: D2890052 00010D03
	s_and_b32 s82, s82, 0xffffff                               // 000000016514: 8652FF52 00FFFFFF
	s_cmp_lt_u32 s82, s66                                      // 00000001651C: BF0A4252
	s_cselect_b32 s20, s36, s60                                // 000000016520: 85143C24
	v_readlane_b32 s82, v3, 7                                  // 000000016524: D2890052 00010F03
	s_and_b32 s82, s82, 0xffffff                               // 00000001652C: 8652FF52 00FFFFFF
	s_cmp_lt_u32 s82, s66                                      // 000000016534: BF0A4252
	s_cselect_b32 s21, s36, s60                                // 000000016538: 85153C24
	s_mov_b64 exec, s[20:21]                                   // 00000001653C: BEFE0114
	buffer_store_dword v65, v6, s[8:11], 0 offen               // 000000016540: E0701000 80024106
	buffer_store_dword v67, v6, s[8:11], 0 offen offset:128    // 000000016548: E0701080 80024306
	buffer_store_dword v69, v6, s[8:11], 0 offen offset:256    // 000000016550: E0701100 80024506
	buffer_store_dword v71, v6, s[8:11], 0 offen offset:384    // 000000016558: E0701180 80024706
	s_mov_b64 exec, s[36:37]                                   // 000000016560: BEFE0124
	v_mov_b32_e32 v6, v46                                      // 000000016564: 7E0C032E
	s_mov_b64 s[60:61], 0                                      // 000000016568: BEBC0180
	v_readlane_b32 s82, v3, 8                                  // 00000001656C: D2890052 00011103
	s_and_b32 s82, s82, 0xffffff                               // 000000016574: 8652FF52 00FFFFFF
	s_cmp_lt_u32 s82, s66                                      // 00000001657C: BF0A4252
	s_cselect_b32 s20, s36, s60                                // 000000016580: 85143C24
	v_readlane_b32 s82, v3, 9                                  // 000000016584: D2890052 00011303
	s_and_b32 s82, s82, 0xffffff                               // 00000001658C: 8652FF52 00FFFFFF
	s_cmp_lt_u32 s82, s66                                      // 000000016594: BF0A4252
	s_cselect_b32 s21, s36, s60                                // 000000016598: 85153C24
	s_mov_b64 exec, s[20:21]                                   // 00000001659C: BEFE0114
	buffer_store_dword v72, v6, s[8:11], 0 offen               // 0000000165A0: E0701000 80024806
	buffer_store_dword v74, v6, s[8:11], 0 offen offset:128    // 0000000165A8: E0701080 80024A06
	buffer_store_dword v76, v6, s[8:11], 0 offen offset:256    // 0000000165B0: E0701100 80024C06
	buffer_store_dword v78, v6, s[8:11], 0 offen offset:384    // 0000000165B8: E0701180 80024E06
	s_mov_b64 exec, s[36:37]                                   // 0000000165C0: BEFE0124
	v_mov_b32_e32 v6, v47                                      // 0000000165C4: 7E0C032F
	s_mov_b64 s[60:61], 0                                      // 0000000165C8: BEBC0180
	v_readlane_b32 s82, v3, 10                                 // 0000000165CC: D2890052 00011503
	s_and_b32 s82, s82, 0xffffff                               // 0000000165D4: 8652FF52 00FFFFFF
	s_cmp_lt_u32 s82, s66                                      // 0000000165DC: BF0A4252
	s_cselect_b32 s20, s36, s60                                // 0000000165E0: 85143C24
	v_readlane_b32 s82, v3, 11                                 // 0000000165E4: D2890052 00011703
	s_and_b32 s82, s82, 0xffffff                               // 0000000165EC: 8652FF52 00FFFFFF
	s_cmp_lt_u32 s82, s66                                      // 0000000165F4: BF0A4252
	s_cselect_b32 s21, s36, s60                                // 0000000165F8: 85153C24
	s_mov_b64 exec, s[20:21]                                   // 0000000165FC: BEFE0114
	buffer_store_dword v73, v6, s[8:11], 0 offen               // 000000016600: E0701000 80024906
	buffer_store_dword v75, v6, s[8:11], 0 offen offset:128    // 000000016608: E0701080 80024B06
	buffer_store_dword v77, v6, s[8:11], 0 offen offset:256    // 000000016610: E0701100 80024D06
	buffer_store_dword v79, v6, s[8:11], 0 offen offset:384    // 000000016618: E0701180 80024F06
	s_mov_b64 exec, s[36:37]                                   // 000000016620: BEFE0124
	s_cmp_eq_u32 s7, 0                                         // 000000016624: BF068007
	s_cbranch_scc0 label_553E                                  // 000000016628: BF840630
	s_waitcnt vmcnt(24)                                        // 00000001662C: BF8C4F78
	s_mov_b32 s8, s90                                          // 000000016630: BE88005A
	s_mov_b32 s9, s91                                          // 000000016634: BE89005B
	s_mul_i32 s60, s66, s71                                    // 000000016638: 923C4742
	s_add_u32 s8, s60, s8                                      // 00000001663C: 8008083C
	s_addc_u32 s9, 0, s9                                       // 000000016640: 82090980
	s_lshr_b32 s71, s71, 5                                     // 000000016644: 8F478547
	s_mul_i32 s60, s66, s71                                    // 000000016648: 923C4742
	s_mov_b32 s10, s60                                         // 00000001664C: BE8A003C
	s_lshr_b32 s61, s65, 5                                     // 000000016650: 8F3D8541
	s_mul_i32 s60, s2, 16                                      // 000000016654: 923C9002
	v_lshrrev_b32_e32 v4, 24, v30                              // 000000016658: 20083C98
	v_mul_lo_u32 v4, s61, v4                                   // 00000001665C: D2850004 0002083D
	v_and_b32_e32 v30, 0xffffff, v30                           // 000000016664: 263C3CFF 00FFFFFF
	v_mul_lo_u32 v30, s71, v30                                 // 00000001666C: D285001E 00023C47
	v_add_u32_e32 v30, v4, v30                                 // 000000016674: 683C3D04
	v_add_u32_e32 v30, s60, v30                                // 000000016678: 683C3C3C
	v_lshrrev_b32_e32 v4, 24, v31                              // 00000001667C: 20083E98
	v_mul_lo_u32 v4, s61, v4                                   // 000000016680: D2850004 0002083D
	v_and_b32_e32 v31, 0xffffff, v31                           // 000000016688: 263E3EFF 00FFFFFF
	v_mul_lo_u32 v31, s71, v31                                 // 000000016690: D285001F 00023E47
	v_add_u32_e32 v31, v4, v31                                 // 000000016698: 683E3F04
	v_add_u32_e32 v31, s60, v31                                // 00000001669C: 683E3E3C
	v_lshrrev_b32_e32 v4, 24, v32                              // 0000000166A0: 20084098
	v_mul_lo_u32 v4, s61, v4                                   // 0000000166A4: D2850004 0002083D
	v_and_b32_e32 v32, 0xffffff, v32                           // 0000000166AC: 264040FF 00FFFFFF
	v_mul_lo_u32 v32, s71, v32                                 // 0000000166B4: D2850020 00024047
	v_add_u32_e32 v32, v4, v32                                 // 0000000166BC: 68404104
	v_add_u32_e32 v32, s60, v32                                // 0000000166C0: 6840403C
	s_mov_b64 exec, 0xffff                                     // 0000000166C4: BEFE01FF 0000FFFF
	buffer_store_dword v152, v30, s[8:11], 0 offen             // 0000000166CC: E0701000 8002981E
	buffer_store_dword v155, v30, s[8:11], 0 offen offset:4    // 0000000166D4: E0701004 80029B1E
	buffer_store_dword v158, v30, s[8:11], 0 offen offset:8    // 0000000166DC: E0701008 80029E1E
	buffer_store_dword v161, v30, s[8:11], 0 offen offset:12   // 0000000166E4: E070100C 8002A11E
	buffer_store_dword v153, v31, s[8:11], 0 offen             // 0000000166EC: E0701000 8002991F
	buffer_store_dword v156, v31, s[8:11], 0 offen offset:4    // 0000000166F4: E0701004 80029C1F
	buffer_store_dword v159, v31, s[8:11], 0 offen offset:8    // 0000000166FC: E0701008 80029F1F
	buffer_store_dword v162, v31, s[8:11], 0 offen offset:12   // 000000016704: E070100C 8002A21F
	buffer_store_dword v154, v32, s[8:11], 0 offen             // 00000001670C: E0701000 80029A20
	buffer_store_dword v157, v32, s[8:11], 0 offen offset:4    // 000000016714: E0701004 80029D20
	buffer_store_dword v160, v32, s[8:11], 0 offen offset:8    // 00000001671C: E0701008 8002A020
	buffer_store_dword v163, v32, s[8:11], 0 offen offset:12   // 000000016724: E070100C 8002A320
	s_mov_b64 exec, s[36:37]                                   // 00000001672C: BEFE0124
	s_branch label_553E                                        // 000000016730: BF8205EE

0000000000016734 <label_4F50>:
	ds_write_b64 v20, v[56:57]                                 // 000000016734: D89A0000 00003814
	ds_write_b64 v20, v[60:61] offset:17408                    // 00000001673C: D89A4400 00003C14
	ds_write_b64 v20, v[64:65] offset:34816                    // 000000016744: D89A8800 00004014
	ds_write_b64 v20, v[68:69] offset:2176                     // 00000001674C: D89A0880 00004414
	ds_write_b64 v20, v[72:73] offset:19584                    // 000000016754: D89A4C80 00004814
	ds_write_b64 v20, v[76:77] offset:36992                    // 00000001675C: D89A9080 00004C14
	ds_write_b64 v20, v[80:81] offset:4352                     // 000000016764: D89A1100 00005014
	ds_write_b64 v20, v[84:85] offset:21760                    // 00000001676C: D89A5500 00005414
	ds_write_b64 v20, v[88:89] offset:39168                    // 000000016774: D89A9900 00005814
	ds_write_b64 v20, v[92:93] offset:6528                     // 00000001677C: D89A1980 00005C14
	ds_write_b64 v20, v[96:97] offset:23936                    // 000000016784: D89A5D80 00006014
	ds_write_b64 v20, v[100:101] offset:41344                  // 00000001678C: D89AA180 00006414
	ds_write_b64 v20, v[104:105] offset:8704                   // 000000016794: D89A2200 00006814
	ds_write_b64 v20, v[108:109] offset:26112                  // 00000001679C: D89A6600 00006C14
	ds_write_b64 v20, v[112:113] offset:43520                  // 0000000167A4: D89AAA00 00007014
	ds_write_b64 v20, v[116:117] offset:10880                  // 0000000167AC: D89A2A80 00007414
	ds_write_b64 v20, v[120:121] offset:28288                  // 0000000167B4: D89A6E80 00007814
	ds_write_b64 v20, v[124:125] offset:45696                  // 0000000167BC: D89AB280 00007C14
	ds_write_b64 v20, v[128:129] offset:13056                  // 0000000167C4: D89A3300 00008014
	ds_write_b64 v20, v[132:133] offset:30464                  // 0000000167CC: D89A7700 00008414
	ds_write_b64 v20, v[136:137] offset:47872                  // 0000000167D4: D89ABB00 00008814
	ds_write_b64 v20, v[140:141] offset:15232                  // 0000000167DC: D89A3B80 00008C14
	ds_write_b64 v20, v[144:145] offset:32640                  // 0000000167E4: D89A7F80 00009014
	ds_write_b64 v20, v[148:149] offset:50048                  // 0000000167EC: D89AC380 00009414
	v_lshrrev_b32_e32 v4, 5, v0                                // 0000000167F4: 20080085
	v_xor_b32_e32 v5, 1, v4                                    // 0000000167F8: 2A0A0881
	s_mul_i32 s60, s65, 1                                      // 0000000167FC: 923C8141
	s_cmp_eq_u32 s88, 0                                        // 000000016800: BF068058
	s_cselect_b32 s61, 1, 8                                    // 000000016804: 853D8881
	s_mul_i32 s60, s61, s60                                    // 000000016808: 923C3C3D
	v_readlane_b32 s82, v3, 0                                  // 00000001680C: D2890052 00010103
	s_lshr_b32 s61, s82, 24                                    // 000000016814: 8F3D9852
	s_and_b32 s82, s82, 0xffffff                               // 000000016818: 8652FF52 00FFFFFF
	s_mul_i32 s82, s82, s71                                    // 000000016820: 92524752
	s_mul_i32 s61, s60, s61                                    // 000000016824: 923D3D3C
	s_add_u32 s82, s82, s61                                    // 000000016828: 80523D52
	v_mul_lo_u32 v6, v5, s82                                   // 00000001682C: D2850006 0000A505
	v_readlane_b32 s82, v3, 1                                  // 000000016834: D2890052 00010303
	s_lshr_b32 s61, s82, 24                                    // 00000001683C: 8F3D9852
	s_and_b32 s82, s82, 0xffffff                               // 000000016840: 8652FF52 00FFFFFF
	s_mul_i32 s82, s82, s71                                    // 000000016848: 92524752
	s_mul_i32 s61, s60, s61                                    // 00000001684C: 923D3D3C
	s_add_u32 s82, s82, s61                                    // 000000016850: 80523D52
	v_mul_lo_u32 v7, v4, s82                                   // 000000016854: D2850007 0000A504
	v_add_u32_e32 v42, v6, v7                                  // 00000001685C: 68540F06
	v_readlane_b32 s82, v3, 2                                  // 000000016860: D2890052 00010503
	s_lshr_b32 s61, s82, 24                                    // 000000016868: 8F3D9852
	s_and_b32 s82, s82, 0xffffff                               // 00000001686C: 8652FF52 00FFFFFF
	s_mul_i32 s82, s82, s71                                    // 000000016874: 92524752
	s_mul_i32 s61, s60, s61                                    // 000000016878: 923D3D3C
	s_add_u32 s82, s82, s61                                    // 00000001687C: 80523D52
	v_mul_lo_u32 v6, v5, s82                                   // 000000016880: D2850006 0000A505
	v_readlane_b32 s82, v3, 3                                  // 000000016888: D2890052 00010703
	s_lshr_b32 s61, s82, 24                                    // 000000016890: 8F3D9852
	s_and_b32 s82, s82, 0xffffff                               // 000000016894: 8652FF52 00FFFFFF
	s_mul_i32 s82, s82, s71                                    // 00000001689C: 92524752
	s_mul_i32 s61, s60, s61                                    // 0000000168A0: 923D3D3C
	s_add_u32 s82, s82, s61                                    // 0000000168A4: 80523D52
	v_mul_lo_u32 v7, v4, s82                                   // 0000000168A8: D2850007 0000A504
	v_add_u32_e32 v43, v6, v7                                  // 0000000168B0: 68560F06
	v_readlane_b32 s82, v3, 4                                  // 0000000168B4: D2890052 00010903
	s_lshr_b32 s61, s82, 24                                    // 0000000168BC: 8F3D9852
	s_and_b32 s82, s82, 0xffffff                               // 0000000168C0: 8652FF52 00FFFFFF
	s_mul_i32 s82, s82, s71                                    // 0000000168C8: 92524752
	s_mul_i32 s61, s60, s61                                    // 0000000168CC: 923D3D3C
	s_add_u32 s82, s82, s61                                    // 0000000168D0: 80523D52
	v_mul_lo_u32 v6, v5, s82                                   // 0000000168D4: D2850006 0000A505
	v_readlane_b32 s82, v3, 5                                  // 0000000168DC: D2890052 00010B03
	s_lshr_b32 s61, s82, 24                                    // 0000000168E4: 8F3D9852
	s_and_b32 s82, s82, 0xffffff                               // 0000000168E8: 8652FF52 00FFFFFF
	s_mul_i32 s82, s82, s71                                    // 0000000168F0: 92524752
	s_mul_i32 s61, s60, s61                                    // 0000000168F4: 923D3D3C
	s_add_u32 s82, s82, s61                                    // 0000000168F8: 80523D52
	v_mul_lo_u32 v7, v4, s82                                   // 0000000168FC: D2850007 0000A504
	v_add_u32_e32 v44, v6, v7                                  // 000000016904: 68580F06
	v_readlane_b32 s82, v3, 6                                  // 000000016908: D2890052 00010D03
	s_lshr_b32 s61, s82, 24                                    // 000000016910: 8F3D9852
	s_and_b32 s82, s82, 0xffffff                               // 000000016914: 8652FF52 00FFFFFF
	s_mul_i32 s82, s82, s71                                    // 00000001691C: 92524752
	s_mul_i32 s61, s60, s61                                    // 000000016920: 923D3D3C
	s_add_u32 s82, s82, s61                                    // 000000016924: 80523D52
	v_mul_lo_u32 v6, v5, s82                                   // 000000016928: D2850006 0000A505
	v_readlane_b32 s82, v3, 7                                  // 000000016930: D2890052 00010F03
	s_lshr_b32 s61, s82, 24                                    // 000000016938: 8F3D9852
	s_and_b32 s82, s82, 0xffffff                               // 00000001693C: 8652FF52 00FFFFFF
	s_mul_i32 s82, s82, s71                                    // 000000016944: 92524752
	s_mul_i32 s61, s60, s61                                    // 000000016948: 923D3D3C
	s_add_u32 s82, s82, s61                                    // 00000001694C: 80523D52
	v_mul_lo_u32 v7, v4, s82                                   // 000000016950: D2850007 0000A504
	v_add_u32_e32 v45, v6, v7                                  // 000000016958: 685A0F06
	v_readlane_b32 s82, v3, 8                                  // 00000001695C: D2890052 00011103
	s_lshr_b32 s61, s82, 24                                    // 000000016964: 8F3D9852
	s_and_b32 s82, s82, 0xffffff                               // 000000016968: 8652FF52 00FFFFFF
	s_mul_i32 s82, s82, s71                                    // 000000016970: 92524752
	s_mul_i32 s61, s60, s61                                    // 000000016974: 923D3D3C
	s_add_u32 s82, s82, s61                                    // 000000016978: 80523D52
	v_mul_lo_u32 v6, v5, s82                                   // 00000001697C: D2850006 0000A505
	v_readlane_b32 s82, v3, 9                                  // 000000016984: D2890052 00011303
	s_lshr_b32 s61, s82, 24                                    // 00000001698C: 8F3D9852
	s_and_b32 s82, s82, 0xffffff                               // 000000016990: 8652FF52 00FFFFFF
	s_mul_i32 s82, s82, s71                                    // 000000016998: 92524752
	s_mul_i32 s61, s60, s61                                    // 00000001699C: 923D3D3C
	s_add_u32 s82, s82, s61                                    // 0000000169A0: 80523D52
	v_mul_lo_u32 v7, v4, s82                                   // 0000000169A4: D2850007 0000A504
	v_add_u32_e32 v46, v6, v7                                  // 0000000169AC: 685C0F06
	v_readlane_b32 s82, v3, 10                                 // 0000000169B0: D2890052 00011503
	s_lshr_b32 s61, s82, 24                                    // 0000000169B8: 8F3D9852
	s_and_b32 s82, s82, 0xffffff                               // 0000000169BC: 8652FF52 00FFFFFF
	s_mul_i32 s82, s82, s71                                    // 0000000169C4: 92524752
	s_mul_i32 s61, s60, s61                                    // 0000000169C8: 923D3D3C
	s_add_u32 s82, s82, s61                                    // 0000000169CC: 80523D52
	v_mul_lo_u32 v6, v5, s82                                   // 0000000169D0: D2850006 0000A505
	v_readlane_b32 s82, v3, 11                                 // 0000000169D8: D2890052 00011703
	s_lshr_b32 s61, s82, 24                                    // 0000000169E0: 8F3D9852
	s_and_b32 s82, s82, 0xffffff                               // 0000000169E4: 8652FF52 00FFFFFF
	s_mul_i32 s82, s82, s71                                    // 0000000169EC: 92524752
	s_mul_i32 s61, s60, s61                                    // 0000000169F0: 923D3D3C
	s_add_u32 s82, s82, s61                                    // 0000000169F4: 80523D52
	v_mul_lo_u32 v7, v4, s82                                   // 0000000169F8: D2850007 0000A504
	v_add_u32_e32 v47, v6, v7                                  // 000000016A00: 685E0F06
	v_and_b32_e32 v4, 31, v0                                   // 000000016A04: 2608009F
	v_lshrrev_b32_e32 v4, 1, v4                                // 000000016A08: 20080881
	s_cmp_eq_u32 s88, 0                                        // 000000016A0C: BF068058
	s_cselect_b32 s61, 2, 4                                    // 000000016A10: 853D8482
	v_mul_lo_u32 v4, v4, s61                                   // 000000016A14: D2850004 00007B04
	v_and_b32_e64 v5, v0, 1                                    // 000000016A1C: D1130005 00010300
	v_add_u32_e32 v4, v4, v5                                   // 000000016A24: 68080B04
	v_lshlrev_b32_e32 v4, 2, v4                                // 000000016A28: 24080882
	v_add_u32_e32 v42, v42, v4                                 // 000000016A2C: 6854092A
	v_add_u32_e32 v43, v43, v4                                 // 000000016A30: 6856092B
	v_add_u32_e32 v44, v44, v4                                 // 000000016A34: 6858092C
	v_add_u32_e32 v45, v45, v4                                 // 000000016A38: 685A092D
	v_add_u32_e32 v46, v46, v4                                 // 000000016A3C: 685C092E
	v_add_u32_e32 v47, v47, v4                                 // 000000016A40: 685E092F
	s_waitcnt lgkmcnt(0)                                       // 000000016A44: BF8CC07F
	s_barrier                                                  // 000000016A48: BF8A0000
	ds_read_b32 v56, v21                                       // 000000016A4C: D86C0000 38000015
	ds_read_b32 v57, v21 offset:64                             // 000000016A54: D86C0040 39000015
	ds_read_b32 v60, v21 offset:2176                           // 000000016A5C: D86C0880 3C000015
	ds_read_b32 v61, v21 offset:2240                           // 000000016A64: D86C08C0 3D000015
	ds_read_b32 v64, v21 offset:4352                           // 000000016A6C: D86C1100 40000015
	ds_read_b32 v65, v21 offset:4416                           // 000000016A74: D86C1140 41000015
	ds_read_b32 v68, v21 offset:6528                           // 000000016A7C: D86C1980 44000015
	ds_read_b32 v69, v21 offset:6592                           // 000000016A84: D86C19C0 45000015
	ds_read_b32 v72, v21 offset:8704                           // 000000016A8C: D86C2200 48000015
	ds_read_b32 v73, v21 offset:8768                           // 000000016A94: D86C2240 49000015
	ds_read_b32 v76, v21 offset:10880                          // 000000016A9C: D86C2A80 4C000015
	ds_read_b32 v77, v21 offset:10944                          // 000000016AA4: D86C2AC0 4D000015
	ds_read_b32 v80, v21 offset:13056                          // 000000016AAC: D86C3300 50000015
	ds_read_b32 v81, v21 offset:13120                          // 000000016AB4: D86C3340 51000015
	ds_read_b32 v84, v21 offset:15232                          // 000000016ABC: D86C3B80 54000015
	ds_read_b32 v85, v21 offset:15296                          // 000000016AC4: D86C3BC0 55000015
	ds_read_b32 v88, v21 offset:17408                          // 000000016ACC: D86C4400 58000015
	ds_read_b32 v89, v21 offset:17472                          // 000000016AD4: D86C4440 59000015
	ds_read_b32 v92, v21 offset:19584                          // 000000016ADC: D86C4C80 5C000015
	ds_read_b32 v93, v21 offset:19648                          // 000000016AE4: D86C4CC0 5D000015
	ds_read_b32 v96, v21 offset:21760                          // 000000016AEC: D86C5500 60000015
	ds_read_b32 v97, v21 offset:21824                          // 000000016AF4: D86C5540 61000015
	ds_read_b32 v100, v21 offset:23936                         // 000000016AFC: D86C5D80 64000015
	ds_read_b32 v101, v21 offset:24000                         // 000000016B04: D86C5DC0 65000015
	ds_read_b32 v104, v21 offset:26112                         // 000000016B0C: D86C6600 68000015
	ds_read_b32 v105, v21 offset:26176                         // 000000016B14: D86C6640 69000015
	ds_read_b32 v108, v21 offset:28288                         // 000000016B1C: D86C6E80 6C000015
	ds_read_b32 v109, v21 offset:28352                         // 000000016B24: D86C6EC0 6D000015
	ds_read_b32 v112, v21 offset:30464                         // 000000016B2C: D86C7700 70000015
	ds_read_b32 v113, v21 offset:30528                         // 000000016B34: D86C7740 71000015
	ds_read_b32 v116, v21 offset:32640                         // 000000016B3C: D86C7F80 74000015
	ds_read_b32 v117, v21 offset:32704                         // 000000016B44: D86C7FC0 75000015
	ds_read_b32 v120, v21 offset:34816                         // 000000016B4C: D86C8800 78000015
	ds_read_b32 v121, v21 offset:34880                         // 000000016B54: D86C8840 79000015
	ds_read_b32 v124, v21 offset:36992                         // 000000016B5C: D86C9080 7C000015
	ds_read_b32 v125, v21 offset:37056                         // 000000016B64: D86C90C0 7D000015
	ds_read_b32 v128, v21 offset:39168                         // 000000016B6C: D86C9900 80000015
	ds_read_b32 v129, v21 offset:39232                         // 000000016B74: D86C9940 81000015
	ds_read_b32 v132, v21 offset:41344                         // 000000016B7C: D86CA180 84000015
	ds_read_b32 v133, v21 offset:41408                         // 000000016B84: D86CA1C0 85000015
	ds_read_b32 v136, v21 offset:43520                         // 000000016B8C: D86CAA00 88000015
	ds_read_b32 v137, v21 offset:43584                         // 000000016B94: D86CAA40 89000015
	ds_read_b32 v140, v21 offset:45696                         // 000000016B9C: D86CB280 8C000015
	ds_read_b32 v141, v21 offset:45760                         // 000000016BA4: D86CB2C0 8D000015
	ds_read_b32 v144, v21 offset:47872                         // 000000016BAC: D86CBB00 90000015
	ds_read_b32 v145, v21 offset:47936                         // 000000016BB4: D86CBB40 91000015
	ds_read_b32 v148, v21 offset:50048                         // 000000016BBC: D86CC380 94000015
	ds_read_b32 v149, v21 offset:50112                         // 000000016BC4: D86CC3C0 95000015
	s_waitcnt lgkmcnt(0)                                       // 000000016BCC: BF8CC07F
	s_mov_b32 s36, -1                                          // 000000016BD0: BEA400C1
	s_mov_b32 s37, -1                                          // 000000016BD4: BEA500C1
	v_mov_b32_e32 v7, 0                                        // 000000016BD8: 7E0E0280
	s_mov_b64 exec, s[36:37]                                   // 000000016BDC: BEFE0124
	v_mov_b32_e32 v6, v42                                      // 000000016BE0: 7E0C032A
	s_mov_b64 s[60:61], 0                                      // 000000016BE4: BEBC0180
	v_readlane_b32 s82, v3, 0                                  // 000000016BE8: D2890052 00010103
	s_and_b32 s82, s82, 0xffffff                               // 000000016BF0: 8652FF52 00FFFFFF
	s_cmp_lt_u32 s82, s66                                      // 000000016BF8: BF0A4252
	s_cselect_b32 s20, s36, s60                                // 000000016BFC: 85143C24
	v_readlane_b32 s82, v3, 1                                  // 000000016C00: D2890052 00010303
	s_and_b32 s82, s82, 0xffffff                               // 000000016C08: 8652FF52 00FFFFFF
	s_cmp_lt_u32 s82, s66                                      // 000000016C10: BF0A4252
	s_cselect_b32 s21, s36, s60                                // 000000016C14: 85153C24
	s_mov_b64 exec, s[20:21]                                   // 000000016C18: BEFE0114
	global_atomic_add_f32 v6, v56, s[8:9]                      // 000000016C1C: DD348000 00083806
	global_atomic_add_f32 v6, v60, s[8:9] offset:256           // 000000016C24: DD348100 00083C06
	global_atomic_add_f32 v6, v64, s[8:9] offset:512           // 000000016C2C: DD348200 00084006
	global_atomic_add_f32 v6, v68, s[8:9] offset:768           // 000000016C34: DD348300 00084406
	global_atomic_add_f32 v6, v72, s[8:9] offset:1024          // 000000016C3C: DD348400 00084806
	global_atomic_add_f32 v6, v76, s[8:9] offset:1280          // 000000016C44: DD348500 00084C06
	global_atomic_add_f32 v6, v80, s[8:9] offset:1536          // 000000016C4C: DD348600 00085006
	global_atomic_add_f32 v6, v84, s[8:9] offset:1792          // 000000016C54: DD348700 00085406
	s_mov_b64 exec, s[36:37]                                   // 000000016C5C: BEFE0124
	v_mov_b32_e32 v6, v43                                      // 000000016C60: 7E0C032B
	s_mov_b64 s[60:61], 0                                      // 000000016C64: BEBC0180
	v_readlane_b32 s82, v3, 2                                  // 000000016C68: D2890052 00010503
	s_and_b32 s82, s82, 0xffffff                               // 000000016C70: 8652FF52 00FFFFFF
	s_cmp_lt_u32 s82, s66                                      // 000000016C78: BF0A4252
	s_cselect_b32 s20, s36, s60                                // 000000016C7C: 85143C24
	v_readlane_b32 s82, v3, 3                                  // 000000016C80: D2890052 00010703
	s_and_b32 s82, s82, 0xffffff                               // 000000016C88: 8652FF52 00FFFFFF
	s_cmp_lt_u32 s82, s66                                      // 000000016C90: BF0A4252
	s_cselect_b32 s21, s36, s60                                // 000000016C94: 85153C24
	s_mov_b64 exec, s[20:21]                                   // 000000016C98: BEFE0114
	global_atomic_add_f32 v6, v57, s[8:9]                      // 000000016C9C: DD348000 00083906
	global_atomic_add_f32 v6, v61, s[8:9] offset:256           // 000000016CA4: DD348100 00083D06
	global_atomic_add_f32 v6, v65, s[8:9] offset:512           // 000000016CAC: DD348200 00084106
	global_atomic_add_f32 v6, v69, s[8:9] offset:768           // 000000016CB4: DD348300 00084506
	global_atomic_add_f32 v6, v73, s[8:9] offset:1024          // 000000016CBC: DD348400 00084906
	global_atomic_add_f32 v6, v77, s[8:9] offset:1280          // 000000016CC4: DD348500 00084D06
	global_atomic_add_f32 v6, v81, s[8:9] offset:1536          // 000000016CCC: DD348600 00085106
	global_atomic_add_f32 v6, v85, s[8:9] offset:1792          // 000000016CD4: DD348700 00085506
	s_mov_b64 exec, s[36:37]                                   // 000000016CDC: BEFE0124
	v_mov_b32_e32 v6, v44                                      // 000000016CE0: 7E0C032C
	s_mov_b64 s[60:61], 0                                      // 000000016CE4: BEBC0180
	v_readlane_b32 s82, v3, 4                                  // 000000016CE8: D2890052 00010903
	s_and_b32 s82, s82, 0xffffff                               // 000000016CF0: 8652FF52 00FFFFFF
	s_cmp_lt_u32 s82, s66                                      // 000000016CF8: BF0A4252
	s_cselect_b32 s20, s36, s60                                // 000000016CFC: 85143C24
	v_readlane_b32 s82, v3, 5                                  // 000000016D00: D2890052 00010B03
	s_and_b32 s82, s82, 0xffffff                               // 000000016D08: 8652FF52 00FFFFFF
	s_cmp_lt_u32 s82, s66                                      // 000000016D10: BF0A4252
	s_cselect_b32 s21, s36, s60                                // 000000016D14: 85153C24
	s_mov_b64 exec, s[20:21]                                   // 000000016D18: BEFE0114
	global_atomic_add_f32 v6, v88, s[8:9]                      // 000000016D1C: DD348000 00085806
	global_atomic_add_f32 v6, v92, s[8:9] offset:256           // 000000016D24: DD348100 00085C06
	global_atomic_add_f32 v6, v96, s[8:9] offset:512           // 000000016D2C: DD348200 00086006
	global_atomic_add_f32 v6, v100, s[8:9] offset:768          // 000000016D34: DD348300 00086406
	global_atomic_add_f32 v6, v104, s[8:9] offset:1024         // 000000016D3C: DD348400 00086806
	global_atomic_add_f32 v6, v108, s[8:9] offset:1280         // 000000016D44: DD348500 00086C06
	global_atomic_add_f32 v6, v112, s[8:9] offset:1536         // 000000016D4C: DD348600 00087006
	global_atomic_add_f32 v6, v116, s[8:9] offset:1792         // 000000016D54: DD348700 00087406
	s_mov_b64 exec, s[36:37]                                   // 000000016D5C: BEFE0124
	v_mov_b32_e32 v6, v45                                      // 000000016D60: 7E0C032D
	s_mov_b64 s[60:61], 0                                      // 000000016D64: BEBC0180
	v_readlane_b32 s82, v3, 6                                  // 000000016D68: D2890052 00010D03
	s_and_b32 s82, s82, 0xffffff                               // 000000016D70: 8652FF52 00FFFFFF
	s_cmp_lt_u32 s82, s66                                      // 000000016D78: BF0A4252
	s_cselect_b32 s20, s36, s60                                // 000000016D7C: 85143C24
	v_readlane_b32 s82, v3, 7                                  // 000000016D80: D2890052 00010F03
	s_and_b32 s82, s82, 0xffffff                               // 000000016D88: 8652FF52 00FFFFFF
	s_cmp_lt_u32 s82, s66                                      // 000000016D90: BF0A4252
	s_cselect_b32 s21, s36, s60                                // 000000016D94: 85153C24
	s_mov_b64 exec, s[20:21]                                   // 000000016D98: BEFE0114
	global_atomic_add_f32 v6, v89, s[8:9]                      // 000000016D9C: DD348000 00085906
	global_atomic_add_f32 v6, v93, s[8:9] offset:256           // 000000016DA4: DD348100 00085D06
	global_atomic_add_f32 v6, v97, s[8:9] offset:512           // 000000016DAC: DD348200 00086106
	global_atomic_add_f32 v6, v101, s[8:9] offset:768          // 000000016DB4: DD348300 00086506
	global_atomic_add_f32 v6, v105, s[8:9] offset:1024         // 000000016DBC: DD348400 00086906
	global_atomic_add_f32 v6, v109, s[8:9] offset:1280         // 000000016DC4: DD348500 00086D06
	global_atomic_add_f32 v6, v113, s[8:9] offset:1536         // 000000016DCC: DD348600 00087106
	global_atomic_add_f32 v6, v117, s[8:9] offset:1792         // 000000016DD4: DD348700 00087506
	s_mov_b64 exec, s[36:37]                                   // 000000016DDC: BEFE0124
	v_mov_b32_e32 v6, v46                                      // 000000016DE0: 7E0C032E
	s_mov_b64 s[60:61], 0                                      // 000000016DE4: BEBC0180
	v_readlane_b32 s82, v3, 8                                  // 000000016DE8: D2890052 00011103
	s_and_b32 s82, s82, 0xffffff                               // 000000016DF0: 8652FF52 00FFFFFF
	s_cmp_lt_u32 s82, s66                                      // 000000016DF8: BF0A4252
	s_cselect_b32 s20, s36, s60                                // 000000016DFC: 85143C24
	v_readlane_b32 s82, v3, 9                                  // 000000016E00: D2890052 00011303
	s_and_b32 s82, s82, 0xffffff                               // 000000016E08: 8652FF52 00FFFFFF
	s_cmp_lt_u32 s82, s66                                      // 000000016E10: BF0A4252
	s_cselect_b32 s21, s36, s60                                // 000000016E14: 85153C24
	s_mov_b64 exec, s[20:21]                                   // 000000016E18: BEFE0114
	global_atomic_add_f32 v6, v120, s[8:9]                     // 000000016E1C: DD348000 00087806
	global_atomic_add_f32 v6, v124, s[8:9] offset:256          // 000000016E24: DD348100 00087C06
	global_atomic_add_f32 v6, v128, s[8:9] offset:512          // 000000016E2C: DD348200 00088006
	global_atomic_add_f32 v6, v132, s[8:9] offset:768          // 000000016E34: DD348300 00088406
	global_atomic_add_f32 v6, v136, s[8:9] offset:1024         // 000000016E3C: DD348400 00088806
	global_atomic_add_f32 v6, v140, s[8:9] offset:1280         // 000000016E44: DD348500 00088C06
	global_atomic_add_f32 v6, v144, s[8:9] offset:1536         // 000000016E4C: DD348600 00089006
	global_atomic_add_f32 v6, v148, s[8:9] offset:1792         // 000000016E54: DD348700 00089406
	s_mov_b64 exec, s[36:37]                                   // 000000016E5C: BEFE0124
	v_mov_b32_e32 v6, v47                                      // 000000016E60: 7E0C032F
	s_mov_b64 s[60:61], 0                                      // 000000016E64: BEBC0180
	v_readlane_b32 s82, v3, 10                                 // 000000016E68: D2890052 00011503
	s_and_b32 s82, s82, 0xffffff                               // 000000016E70: 8652FF52 00FFFFFF
	s_cmp_lt_u32 s82, s66                                      // 000000016E78: BF0A4252
	s_cselect_b32 s20, s36, s60                                // 000000016E7C: 85143C24
	v_readlane_b32 s82, v3, 11                                 // 000000016E80: D2890052 00011703
	s_and_b32 s82, s82, 0xffffff                               // 000000016E88: 8652FF52 00FFFFFF
	s_cmp_lt_u32 s82, s66                                      // 000000016E90: BF0A4252
	s_cselect_b32 s21, s36, s60                                // 000000016E94: 85153C24
	s_mov_b64 exec, s[20:21]                                   // 000000016E98: BEFE0114
	global_atomic_add_f32 v6, v121, s[8:9]                     // 000000016E9C: DD348000 00087906
	global_atomic_add_f32 v6, v125, s[8:9] offset:256          // 000000016EA4: DD348100 00087D06
	global_atomic_add_f32 v6, v129, s[8:9] offset:512          // 000000016EAC: DD348200 00088106
	global_atomic_add_f32 v6, v133, s[8:9] offset:768          // 000000016EB4: DD348300 00088506
	global_atomic_add_f32 v6, v137, s[8:9] offset:1024         // 000000016EBC: DD348400 00088906
	global_atomic_add_f32 v6, v141, s[8:9] offset:1280         // 000000016EC4: DD348500 00088D06
	global_atomic_add_f32 v6, v145, s[8:9] offset:1536         // 000000016ECC: DD348600 00089106
	global_atomic_add_f32 v6, v149, s[8:9] offset:1792         // 000000016ED4: DD348700 00089506
	s_mov_b64 exec, s[36:37]                                   // 000000016EDC: BEFE0124
	ds_write_b64 v20, v[58:59]                                 // 000000016EE0: D89A0000 00003A14
	ds_write_b64 v20, v[62:63] offset:17408                    // 000000016EE8: D89A4400 00003E14
	ds_write_b64 v20, v[66:67] offset:34816                    // 000000016EF0: D89A8800 00004214
	ds_write_b64 v20, v[70:71] offset:2176                     // 000000016EF8: D89A0880 00004614
	ds_write_b64 v20, v[74:75] offset:19584                    // 000000016F00: D89A4C80 00004A14
	ds_write_b64 v20, v[78:79] offset:36992                    // 000000016F08: D89A9080 00004E14
	ds_write_b64 v20, v[82:83] offset:4352                     // 000000016F10: D89A1100 00005214
	ds_write_b64 v20, v[86:87] offset:21760                    // 000000016F18: D89A5500 00005614
	ds_write_b64 v20, v[90:91] offset:39168                    // 000000016F20: D89A9900 00005A14
	ds_write_b64 v20, v[94:95] offset:6528                     // 000000016F28: D89A1980 00005E14
	ds_write_b64 v20, v[98:99] offset:23936                    // 000000016F30: D89A5D80 00006214
	ds_write_b64 v20, v[102:103] offset:41344                  // 000000016F38: D89AA180 00006614
	ds_write_b64 v20, v[106:107] offset:8704                   // 000000016F40: D89A2200 00006A14
	ds_write_b64 v20, v[110:111] offset:26112                  // 000000016F48: D89A6600 00006E14
	ds_write_b64 v20, v[114:115] offset:43520                  // 000000016F50: D89AAA00 00007214
	ds_write_b64 v20, v[118:119] offset:10880                  // 000000016F58: D89A2A80 00007614
	ds_write_b64 v20, v[122:123] offset:28288                  // 000000016F60: D89A6E80 00007A14
	ds_write_b64 v20, v[126:127] offset:45696                  // 000000016F68: D89AB280 00007E14
	ds_write_b64 v20, v[130:131] offset:13056                  // 000000016F70: D89A3300 00008214
	ds_write_b64 v20, v[134:135] offset:30464                  // 000000016F78: D89A7700 00008614
	ds_write_b64 v20, v[138:139] offset:47872                  // 000000016F80: D89ABB00 00008A14
	ds_write_b64 v20, v[142:143] offset:15232                  // 000000016F88: D89A3B80 00008E14
	ds_write_b64 v20, v[146:147] offset:32640                  // 000000016F90: D89A7F80 00009214
	ds_write_b64 v20, v[150:151] offset:50048                  // 000000016F98: D89AC380 00009614
	s_waitcnt lgkmcnt(0)                                       // 000000016FA0: BF8CC07F
	s_barrier                                                  // 000000016FA4: BF8A0000
	ds_read_b32 v58, v21                                       // 000000016FA8: D86C0000 3A000015
	ds_read_b32 v59, v21 offset:64                             // 000000016FB0: D86C0040 3B000015
	ds_read_b32 v62, v21 offset:2176                           // 000000016FB8: D86C0880 3E000015
	ds_read_b32 v63, v21 offset:2240                           // 000000016FC0: D86C08C0 3F000015
	ds_read_b32 v66, v21 offset:4352                           // 000000016FC8: D86C1100 42000015
	ds_read_b32 v67, v21 offset:4416                           // 000000016FD0: D86C1140 43000015
	ds_read_b32 v70, v21 offset:6528                           // 000000016FD8: D86C1980 46000015
	ds_read_b32 v71, v21 offset:6592                           // 000000016FE0: D86C19C0 47000015
	ds_read_b32 v74, v21 offset:8704                           // 000000016FE8: D86C2200 4A000015
	ds_read_b32 v75, v21 offset:8768                           // 000000016FF0: D86C2240 4B000015
	ds_read_b32 v78, v21 offset:10880                          // 000000016FF8: D86C2A80 4E000015
	ds_read_b32 v79, v21 offset:10944                          // 000000017000: D86C2AC0 4F000015
	ds_read_b32 v82, v21 offset:13056                          // 000000017008: D86C3300 52000015
	ds_read_b32 v83, v21 offset:13120                          // 000000017010: D86C3340 53000015
	ds_read_b32 v86, v21 offset:15232                          // 000000017018: D86C3B80 56000015
	ds_read_b32 v87, v21 offset:15296                          // 000000017020: D86C3BC0 57000015
	ds_read_b32 v90, v21 offset:17408                          // 000000017028: D86C4400 5A000015
	ds_read_b32 v91, v21 offset:17472                          // 000000017030: D86C4440 5B000015
	ds_read_b32 v94, v21 offset:19584                          // 000000017038: D86C4C80 5E000015
	ds_read_b32 v95, v21 offset:19648                          // 000000017040: D86C4CC0 5F000015
	ds_read_b32 v98, v21 offset:21760                          // 000000017048: D86C5500 62000015
	ds_read_b32 v99, v21 offset:21824                          // 000000017050: D86C5540 63000015
	ds_read_b32 v102, v21 offset:23936                         // 000000017058: D86C5D80 66000015
	ds_read_b32 v103, v21 offset:24000                         // 000000017060: D86C5DC0 67000015
	ds_read_b32 v106, v21 offset:26112                         // 000000017068: D86C6600 6A000015
	ds_read_b32 v107, v21 offset:26176                         // 000000017070: D86C6640 6B000015
	ds_read_b32 v110, v21 offset:28288                         // 000000017078: D86C6E80 6E000015
	ds_read_b32 v111, v21 offset:28352                         // 000000017080: D86C6EC0 6F000015
	ds_read_b32 v114, v21 offset:30464                         // 000000017088: D86C7700 72000015
	ds_read_b32 v115, v21 offset:30528                         // 000000017090: D86C7740 73000015
	ds_read_b32 v118, v21 offset:32640                         // 000000017098: D86C7F80 76000015
	ds_read_b32 v119, v21 offset:32704                         // 0000000170A0: D86C7FC0 77000015
	ds_read_b32 v122, v21 offset:34816                         // 0000000170A8: D86C8800 7A000015
	ds_read_b32 v123, v21 offset:34880                         // 0000000170B0: D86C8840 7B000015
	ds_read_b32 v126, v21 offset:36992                         // 0000000170B8: D86C9080 7E000015
	ds_read_b32 v127, v21 offset:37056                         // 0000000170C0: D86C90C0 7F000015
	ds_read_b32 v130, v21 offset:39168                         // 0000000170C8: D86C9900 82000015
	ds_read_b32 v131, v21 offset:39232                         // 0000000170D0: D86C9940 83000015
	ds_read_b32 v134, v21 offset:41344                         // 0000000170D8: D86CA180 86000015
	ds_read_b32 v135, v21 offset:41408                         // 0000000170E0: D86CA1C0 87000015
	ds_read_b32 v138, v21 offset:43520                         // 0000000170E8: D86CAA00 8A000015
	ds_read_b32 v139, v21 offset:43584                         // 0000000170F0: D86CAA40 8B000015
	ds_read_b32 v142, v21 offset:45696                         // 0000000170F8: D86CB280 8E000015
	ds_read_b32 v143, v21 offset:45760                         // 000000017100: D86CB2C0 8F000015
	ds_read_b32 v146, v21 offset:47872                         // 000000017108: D86CBB00 92000015
	ds_read_b32 v147, v21 offset:47936                         // 000000017110: D86CBB40 93000015
	ds_read_b32 v150, v21 offset:50048                         // 000000017118: D86CC380 96000015
	ds_read_b32 v151, v21 offset:50112                         // 000000017120: D86CC3C0 97000015
	s_waitcnt lgkmcnt(0)                                       // 000000017128: BF8CC07F
	v_mov_b32_e32 v7, 0                                        // 00000001712C: 7E0E0280
	s_mov_b64 exec, s[36:37]                                   // 000000017130: BEFE0124
	v_mov_b32_e32 v6, v42                                      // 000000017134: 7E0C032A
	s_mov_b64 s[60:61], 0                                      // 000000017138: BEBC0180
	v_readlane_b32 s82, v3, 0                                  // 00000001713C: D2890052 00010103
	s_and_b32 s82, s82, 0xffffff                               // 000000017144: 8652FF52 00FFFFFF
	s_cmp_lt_u32 s82, s66                                      // 00000001714C: BF0A4252
	s_cselect_b32 s20, s36, s60                                // 000000017150: 85143C24
	v_readlane_b32 s82, v3, 1                                  // 000000017154: D2890052 00010303
	s_and_b32 s82, s82, 0xffffff                               // 00000001715C: 8652FF52 00FFFFFF
	s_cmp_lt_u32 s82, s66                                      // 000000017164: BF0A4252
	s_cselect_b32 s21, s36, s60                                // 000000017168: 85153C24
	s_mov_b64 exec, s[20:21]                                   // 00000001716C: BEFE0114
	global_atomic_add_f32 v6, v58, s[8:9] offset:8             // 000000017170: DD348008 00083A06
	global_atomic_add_f32 v6, v62, s[8:9] offset:264           // 000000017178: DD348108 00083E06
	global_atomic_add_f32 v6, v66, s[8:9] offset:520           // 000000017180: DD348208 00084206
	global_atomic_add_f32 v6, v70, s[8:9] offset:776           // 000000017188: DD348308 00084606
	global_atomic_add_f32 v6, v74, s[8:9] offset:1032          // 000000017190: DD348408 00084A06
	global_atomic_add_f32 v6, v78, s[8:9] offset:1288          // 000000017198: DD348508 00084E06
	global_atomic_add_f32 v6, v82, s[8:9] offset:1544          // 0000000171A0: DD348608 00085206
	global_atomic_add_f32 v6, v86, s[8:9] offset:1800          // 0000000171A8: DD348708 00085606
	s_mov_b64 exec, s[36:37]                                   // 0000000171B0: BEFE0124
	v_mov_b32_e32 v6, v43                                      // 0000000171B4: 7E0C032B
	s_mov_b64 s[60:61], 0                                      // 0000000171B8: BEBC0180
	v_readlane_b32 s82, v3, 2                                  // 0000000171BC: D2890052 00010503
	s_and_b32 s82, s82, 0xffffff                               // 0000000171C4: 8652FF52 00FFFFFF
	s_cmp_lt_u32 s82, s66                                      // 0000000171CC: BF0A4252
	s_cselect_b32 s20, s36, s60                                // 0000000171D0: 85143C24
	v_readlane_b32 s82, v3, 3                                  // 0000000171D4: D2890052 00010703
	s_and_b32 s82, s82, 0xffffff                               // 0000000171DC: 8652FF52 00FFFFFF
	s_cmp_lt_u32 s82, s66                                      // 0000000171E4: BF0A4252
	s_cselect_b32 s21, s36, s60                                // 0000000171E8: 85153C24
	s_mov_b64 exec, s[20:21]                                   // 0000000171EC: BEFE0114
	global_atomic_add_f32 v6, v59, s[8:9] offset:8             // 0000000171F0: DD348008 00083B06
	global_atomic_add_f32 v6, v63, s[8:9] offset:264           // 0000000171F8: DD348108 00083F06
	global_atomic_add_f32 v6, v67, s[8:9] offset:520           // 000000017200: DD348208 00084306
	global_atomic_add_f32 v6, v71, s[8:9] offset:776           // 000000017208: DD348308 00084706
	global_atomic_add_f32 v6, v75, s[8:9] offset:1032          // 000000017210: DD348408 00084B06
	global_atomic_add_f32 v6, v79, s[8:9] offset:1288          // 000000017218: DD348508 00084F06
	global_atomic_add_f32 v6, v83, s[8:9] offset:1544          // 000000017220: DD348608 00085306
	global_atomic_add_f32 v6, v87, s[8:9] offset:1800          // 000000017228: DD348708 00085706
	s_mov_b64 exec, s[36:37]                                   // 000000017230: BEFE0124
	v_mov_b32_e32 v6, v44                                      // 000000017234: 7E0C032C
	s_mov_b64 s[60:61], 0                                      // 000000017238: BEBC0180
	v_readlane_b32 s82, v3, 4                                  // 00000001723C: D2890052 00010903
	s_and_b32 s82, s82, 0xffffff                               // 000000017244: 8652FF52 00FFFFFF
	s_cmp_lt_u32 s82, s66                                      // 00000001724C: BF0A4252
	s_cselect_b32 s20, s36, s60                                // 000000017250: 85143C24
	v_readlane_b32 s82, v3, 5                                  // 000000017254: D2890052 00010B03
	s_and_b32 s82, s82, 0xffffff                               // 00000001725C: 8652FF52 00FFFFFF
	s_cmp_lt_u32 s82, s66                                      // 000000017264: BF0A4252
	s_cselect_b32 s21, s36, s60                                // 000000017268: 85153C24
	s_mov_b64 exec, s[20:21]                                   // 00000001726C: BEFE0114
	global_atomic_add_f32 v6, v90, s[8:9] offset:8             // 000000017270: DD348008 00085A06
	global_atomic_add_f32 v6, v94, s[8:9] offset:264           // 000000017278: DD348108 00085E06
	global_atomic_add_f32 v6, v98, s[8:9] offset:520           // 000000017280: DD348208 00086206
	global_atomic_add_f32 v6, v102, s[8:9] offset:776          // 000000017288: DD348308 00086606
	global_atomic_add_f32 v6, v106, s[8:9] offset:1032         // 000000017290: DD348408 00086A06
	global_atomic_add_f32 v6, v110, s[8:9] offset:1288         // 000000017298: DD348508 00086E06
	global_atomic_add_f32 v6, v114, s[8:9] offset:1544         // 0000000172A0: DD348608 00087206
	global_atomic_add_f32 v6, v118, s[8:9] offset:1800         // 0000000172A8: DD348708 00087606
	s_mov_b64 exec, s[36:37]                                   // 0000000172B0: BEFE0124
	v_mov_b32_e32 v6, v45                                      // 0000000172B4: 7E0C032D
	s_mov_b64 s[60:61], 0                                      // 0000000172B8: BEBC0180
	v_readlane_b32 s82, v3, 6                                  // 0000000172BC: D2890052 00010D03
	s_and_b32 s82, s82, 0xffffff                               // 0000000172C4: 8652FF52 00FFFFFF
	s_cmp_lt_u32 s82, s66                                      // 0000000172CC: BF0A4252
	s_cselect_b32 s20, s36, s60                                // 0000000172D0: 85143C24
	v_readlane_b32 s82, v3, 7                                  // 0000000172D4: D2890052 00010F03
	s_and_b32 s82, s82, 0xffffff                               // 0000000172DC: 8652FF52 00FFFFFF
	s_cmp_lt_u32 s82, s66                                      // 0000000172E4: BF0A4252
	s_cselect_b32 s21, s36, s60                                // 0000000172E8: 85153C24
	s_mov_b64 exec, s[20:21]                                   // 0000000172EC: BEFE0114
	global_atomic_add_f32 v6, v91, s[8:9] offset:8             // 0000000172F0: DD348008 00085B06
	global_atomic_add_f32 v6, v95, s[8:9] offset:264           // 0000000172F8: DD348108 00085F06
	global_atomic_add_f32 v6, v99, s[8:9] offset:520           // 000000017300: DD348208 00086306
	global_atomic_add_f32 v6, v103, s[8:9] offset:776          // 000000017308: DD348308 00086706
	global_atomic_add_f32 v6, v107, s[8:9] offset:1032         // 000000017310: DD348408 00086B06
	global_atomic_add_f32 v6, v111, s[8:9] offset:1288         // 000000017318: DD348508 00086F06
	global_atomic_add_f32 v6, v115, s[8:9] offset:1544         // 000000017320: DD348608 00087306
	global_atomic_add_f32 v6, v119, s[8:9] offset:1800         // 000000017328: DD348708 00087706
	s_mov_b64 exec, s[36:37]                                   // 000000017330: BEFE0124
	v_mov_b32_e32 v6, v46                                      // 000000017334: 7E0C032E
	s_mov_b64 s[60:61], 0                                      // 000000017338: BEBC0180
	v_readlane_b32 s82, v3, 8                                  // 00000001733C: D2890052 00011103
	s_and_b32 s82, s82, 0xffffff                               // 000000017344: 8652FF52 00FFFFFF
	s_cmp_lt_u32 s82, s66                                      // 00000001734C: BF0A4252
	s_cselect_b32 s20, s36, s60                                // 000000017350: 85143C24
	v_readlane_b32 s82, v3, 9                                  // 000000017354: D2890052 00011303
	s_and_b32 s82, s82, 0xffffff                               // 00000001735C: 8652FF52 00FFFFFF
	s_cmp_lt_u32 s82, s66                                      // 000000017364: BF0A4252
	s_cselect_b32 s21, s36, s60                                // 000000017368: 85153C24
	s_mov_b64 exec, s[20:21]                                   // 00000001736C: BEFE0114
	global_atomic_add_f32 v6, v122, s[8:9] offset:8            // 000000017370: DD348008 00087A06
	global_atomic_add_f32 v6, v126, s[8:9] offset:264          // 000000017378: DD348108 00087E06
	global_atomic_add_f32 v6, v130, s[8:9] offset:520          // 000000017380: DD348208 00088206
	global_atomic_add_f32 v6, v134, s[8:9] offset:776          // 000000017388: DD348308 00088606
	global_atomic_add_f32 v6, v138, s[8:9] offset:1032         // 000000017390: DD348408 00088A06
	global_atomic_add_f32 v6, v142, s[8:9] offset:1288         // 000000017398: DD348508 00088E06
	global_atomic_add_f32 v6, v146, s[8:9] offset:1544         // 0000000173A0: DD348608 00089206
	global_atomic_add_f32 v6, v150, s[8:9] offset:1800         // 0000000173A8: DD348708 00089606
	s_mov_b64 exec, s[36:37]                                   // 0000000173B0: BEFE0124
	v_mov_b32_e32 v6, v47                                      // 0000000173B4: 7E0C032F
	s_mov_b64 s[60:61], 0                                      // 0000000173B8: BEBC0180
	v_readlane_b32 s82, v3, 10                                 // 0000000173BC: D2890052 00011503
	s_and_b32 s82, s82, 0xffffff                               // 0000000173C4: 8652FF52 00FFFFFF
	s_cmp_lt_u32 s82, s66                                      // 0000000173CC: BF0A4252
	s_cselect_b32 s20, s36, s60                                // 0000000173D0: 85143C24
	v_readlane_b32 s82, v3, 11                                 // 0000000173D4: D2890052 00011703
	s_and_b32 s82, s82, 0xffffff                               // 0000000173DC: 8652FF52 00FFFFFF
	s_cmp_lt_u32 s82, s66                                      // 0000000173E4: BF0A4252
	s_cselect_b32 s21, s36, s60                                // 0000000173E8: 85153C24
	s_mov_b64 exec, s[20:21]                                   // 0000000173EC: BEFE0114
	global_atomic_add_f32 v6, v123, s[8:9] offset:8            // 0000000173F0: DD348008 00087B06
	global_atomic_add_f32 v6, v127, s[8:9] offset:264          // 0000000173F8: DD348108 00087F06
	global_atomic_add_f32 v6, v131, s[8:9] offset:520          // 000000017400: DD348208 00088306
	global_atomic_add_f32 v6, v135, s[8:9] offset:776          // 000000017408: DD348308 00088706
	global_atomic_add_f32 v6, v139, s[8:9] offset:1032         // 000000017410: DD348408 00088B06
	global_atomic_add_f32 v6, v143, s[8:9] offset:1288         // 000000017418: DD348508 00088F06
	global_atomic_add_f32 v6, v147, s[8:9] offset:1544         // 000000017420: DD348608 00089306
	global_atomic_add_f32 v6, v151, s[8:9] offset:1800         // 000000017428: DD348708 00089706
	s_mov_b64 exec, s[36:37]                                   // 000000017430: BEFE0124
	ds_write_b64 v20, v[152:153]                               // 000000017434: D89A0000 00009814
	ds_write_b64 v20, v[156:157] offset:17408                  // 00000001743C: D89A4400 00009C14
	ds_write_b64 v20, v[160:161] offset:34816                  // 000000017444: D89A8800 0000A014
	ds_write_b64 v20, v[164:165] offset:2176                   // 00000001744C: D89A0880 0000A414
	ds_write_b64 v20, v[168:169] offset:19584                  // 000000017454: D89A4C80 0000A814
	ds_write_b64 v20, v[172:173] offset:36992                  // 00000001745C: D89A9080 0000AC14
	ds_write_b64 v20, v[176:177] offset:4352                   // 000000017464: D89A1100 0000B014
	ds_write_b64 v20, v[180:181] offset:21760                  // 00000001746C: D89A5500 0000B414
	ds_write_b64 v20, v[184:185] offset:39168                  // 000000017474: D89A9900 0000B814
	ds_write_b64 v20, v[188:189] offset:6528                   // 00000001747C: D89A1980 0000BC14
	ds_write_b64 v20, v[192:193] offset:23936                  // 000000017484: D89A5D80 0000C014
	ds_write_b64 v20, v[196:197] offset:41344                  // 00000001748C: D89AA180 0000C414
	ds_write_b64 v20, v[200:201] offset:8704                   // 000000017494: D89A2200 0000C814
	ds_write_b64 v20, v[204:205] offset:26112                  // 00000001749C: D89A6600 0000CC14
	ds_write_b64 v20, v[208:209] offset:43520                  // 0000000174A4: D89AAA00 0000D014
	ds_write_b64 v20, v[212:213] offset:10880                  // 0000000174AC: D89A2A80 0000D414
	ds_write_b64 v20, v[216:217] offset:28288                  // 0000000174B4: D89A6E80 0000D814
	ds_write_b64 v20, v[220:221] offset:45696                  // 0000000174BC: D89AB280 0000DC14
	ds_write_b64 v20, v[224:225] offset:13056                  // 0000000174C4: D89A3300 0000E014
	ds_write_b64 v20, v[228:229] offset:30464                  // 0000000174CC: D89A7700 0000E414
	ds_write_b64 v20, v[232:233] offset:47872                  // 0000000174D4: D89ABB00 0000E814
	ds_write_b64 v20, v[236:237] offset:15232                  // 0000000174DC: D89A3B80 0000EC14
	ds_write_b64 v20, v[240:241] offset:32640                  // 0000000174E4: D89A7F80 0000F014
	ds_write_b64 v20, v[244:245] offset:50048                  // 0000000174EC: D89AC380 0000F414
	s_waitcnt lgkmcnt(0)                                       // 0000000174F4: BF8CC07F
	s_barrier                                                  // 0000000174F8: BF8A0000
	ds_read_b32 v152, v21                                      // 0000000174FC: D86C0000 98000015
	ds_read_b32 v153, v21 offset:64                            // 000000017504: D86C0040 99000015
	ds_read_b32 v156, v21 offset:2176                          // 00000001750C: D86C0880 9C000015
	ds_read_b32 v157, v21 offset:2240                          // 000000017514: D86C08C0 9D000015
	ds_read_b32 v160, v21 offset:4352                          // 00000001751C: D86C1100 A0000015
	ds_read_b32 v161, v21 offset:4416                          // 000000017524: D86C1140 A1000015
	ds_read_b32 v164, v21 offset:6528                          // 00000001752C: D86C1980 A4000015
	ds_read_b32 v165, v21 offset:6592                          // 000000017534: D86C19C0 A5000015
	ds_read_b32 v168, v21 offset:8704                          // 00000001753C: D86C2200 A8000015
	ds_read_b32 v169, v21 offset:8768                          // 000000017544: D86C2240 A9000015
	ds_read_b32 v172, v21 offset:10880                         // 00000001754C: D86C2A80 AC000015
	ds_read_b32 v173, v21 offset:10944                         // 000000017554: D86C2AC0 AD000015
	ds_read_b32 v176, v21 offset:13056                         // 00000001755C: D86C3300 B0000015
	ds_read_b32 v177, v21 offset:13120                         // 000000017564: D86C3340 B1000015
	ds_read_b32 v180, v21 offset:15232                         // 00000001756C: D86C3B80 B4000015
	ds_read_b32 v181, v21 offset:15296                         // 000000017574: D86C3BC0 B5000015
	ds_read_b32 v184, v21 offset:17408                         // 00000001757C: D86C4400 B8000015
	ds_read_b32 v185, v21 offset:17472                         // 000000017584: D86C4440 B9000015
	ds_read_b32 v188, v21 offset:19584                         // 00000001758C: D86C4C80 BC000015
	ds_read_b32 v189, v21 offset:19648                         // 000000017594: D86C4CC0 BD000015
	ds_read_b32 v192, v21 offset:21760                         // 00000001759C: D86C5500 C0000015
	ds_read_b32 v193, v21 offset:21824                         // 0000000175A4: D86C5540 C1000015
	ds_read_b32 v196, v21 offset:23936                         // 0000000175AC: D86C5D80 C4000015
	ds_read_b32 v197, v21 offset:24000                         // 0000000175B4: D86C5DC0 C5000015
	ds_read_b32 v200, v21 offset:26112                         // 0000000175BC: D86C6600 C8000015
	ds_read_b32 v201, v21 offset:26176                         // 0000000175C4: D86C6640 C9000015
	ds_read_b32 v204, v21 offset:28288                         // 0000000175CC: D86C6E80 CC000015
	ds_read_b32 v205, v21 offset:28352                         // 0000000175D4: D86C6EC0 CD000015
	ds_read_b32 v208, v21 offset:30464                         // 0000000175DC: D86C7700 D0000015
	ds_read_b32 v209, v21 offset:30528                         // 0000000175E4: D86C7740 D1000015
	ds_read_b32 v212, v21 offset:32640                         // 0000000175EC: D86C7F80 D4000015
	ds_read_b32 v213, v21 offset:32704                         // 0000000175F4: D86C7FC0 D5000015
	ds_read_b32 v216, v21 offset:34816                         // 0000000175FC: D86C8800 D8000015
	ds_read_b32 v217, v21 offset:34880                         // 000000017604: D86C8840 D9000015
	ds_read_b32 v220, v21 offset:36992                         // 00000001760C: D86C9080 DC000015
	ds_read_b32 v221, v21 offset:37056                         // 000000017614: D86C90C0 DD000015
	ds_read_b32 v224, v21 offset:39168                         // 00000001761C: D86C9900 E0000015
	ds_read_b32 v225, v21 offset:39232                         // 000000017624: D86C9940 E1000015
	ds_read_b32 v228, v21 offset:41344                         // 00000001762C: D86CA180 E4000015
	ds_read_b32 v229, v21 offset:41408                         // 000000017634: D86CA1C0 E5000015
	ds_read_b32 v232, v21 offset:43520                         // 00000001763C: D86CAA00 E8000015
	ds_read_b32 v233, v21 offset:43584                         // 000000017644: D86CAA40 E9000015
	ds_read_b32 v236, v21 offset:45696                         // 00000001764C: D86CB280 EC000015
	ds_read_b32 v237, v21 offset:45760                         // 000000017654: D86CB2C0 ED000015
	ds_read_b32 v240, v21 offset:47872                         // 00000001765C: D86CBB00 F0000015
	ds_read_b32 v241, v21 offset:47936                         // 000000017664: D86CBB40 F1000015
	ds_read_b32 v244, v21 offset:50048                         // 00000001766C: D86CC380 F4000015
	ds_read_b32 v245, v21 offset:50112                         // 000000017674: D86CC3C0 F5000015
	s_mul_i32 s60, s65, 4                                      // 00000001767C: 923C8441
	s_add_u32 s8, s60, s8                                      // 000000017680: 8008083C
	s_addc_u32 s9, 0, s9                                       // 000000017684: 82090980
	s_waitcnt lgkmcnt(0)                                       // 000000017688: BF8CC07F
	v_mov_b32_e32 v7, 0                                        // 00000001768C: 7E0E0280
	s_mov_b64 exec, s[36:37]                                   // 000000017690: BEFE0124
	v_mov_b32_e32 v6, v42                                      // 000000017694: 7E0C032A
	s_mov_b64 s[60:61], 0                                      // 000000017698: BEBC0180
	v_readlane_b32 s82, v3, 0                                  // 00000001769C: D2890052 00010103
	s_and_b32 s82, s82, 0xffffff                               // 0000000176A4: 8652FF52 00FFFFFF
	s_cmp_lt_u32 s82, s66                                      // 0000000176AC: BF0A4252
	s_cselect_b32 s20, s36, s60                                // 0000000176B0: 85143C24
	v_readlane_b32 s82, v3, 1                                  // 0000000176B4: D2890052 00010303
	s_and_b32 s82, s82, 0xffffff                               // 0000000176BC: 8652FF52 00FFFFFF
	s_cmp_lt_u32 s82, s66                                      // 0000000176C4: BF0A4252
	s_cselect_b32 s21, s36, s60                                // 0000000176C8: 85153C24
	s_mov_b64 exec, s[20:21]                                   // 0000000176CC: BEFE0114
	global_atomic_add_f32 v6, v152, s[8:9]                     // 0000000176D0: DD348000 00089806
	global_atomic_add_f32 v6, v156, s[8:9] offset:256          // 0000000176D8: DD348100 00089C06
	global_atomic_add_f32 v6, v160, s[8:9] offset:512          // 0000000176E0: DD348200 0008A006
	global_atomic_add_f32 v6, v164, s[8:9] offset:768          // 0000000176E8: DD348300 0008A406
	global_atomic_add_f32 v6, v168, s[8:9] offset:1024         // 0000000176F0: DD348400 0008A806
	global_atomic_add_f32 v6, v172, s[8:9] offset:1280         // 0000000176F8: DD348500 0008AC06
	global_atomic_add_f32 v6, v176, s[8:9] offset:1536         // 000000017700: DD348600 0008B006
	global_atomic_add_f32 v6, v180, s[8:9] offset:1792         // 000000017708: DD348700 0008B406
	s_mov_b64 exec, s[36:37]                                   // 000000017710: BEFE0124
	v_mov_b32_e32 v6, v43                                      // 000000017714: 7E0C032B
	s_mov_b64 s[60:61], 0                                      // 000000017718: BEBC0180
	v_readlane_b32 s82, v3, 2                                  // 00000001771C: D2890052 00010503
	s_and_b32 s82, s82, 0xffffff                               // 000000017724: 8652FF52 00FFFFFF
	s_cmp_lt_u32 s82, s66                                      // 00000001772C: BF0A4252
	s_cselect_b32 s20, s36, s60                                // 000000017730: 85143C24
	v_readlane_b32 s82, v3, 3                                  // 000000017734: D2890052 00010703
	s_and_b32 s82, s82, 0xffffff                               // 00000001773C: 8652FF52 00FFFFFF
	s_cmp_lt_u32 s82, s66                                      // 000000017744: BF0A4252
	s_cselect_b32 s21, s36, s60                                // 000000017748: 85153C24
	s_mov_b64 exec, s[20:21]                                   // 00000001774C: BEFE0114
	global_atomic_add_f32 v6, v153, s[8:9]                     // 000000017750: DD348000 00089906
	global_atomic_add_f32 v6, v157, s[8:9] offset:256          // 000000017758: DD348100 00089D06
	global_atomic_add_f32 v6, v161, s[8:9] offset:512          // 000000017760: DD348200 0008A106
	global_atomic_add_f32 v6, v165, s[8:9] offset:768          // 000000017768: DD348300 0008A506
	global_atomic_add_f32 v6, v169, s[8:9] offset:1024         // 000000017770: DD348400 0008A906
	global_atomic_add_f32 v6, v173, s[8:9] offset:1280         // 000000017778: DD348500 0008AD06
	global_atomic_add_f32 v6, v177, s[8:9] offset:1536         // 000000017780: DD348600 0008B106
	global_atomic_add_f32 v6, v181, s[8:9] offset:1792         // 000000017788: DD348700 0008B506
	s_mov_b64 exec, s[36:37]                                   // 000000017790: BEFE0124
	v_mov_b32_e32 v6, v44                                      // 000000017794: 7E0C032C
	s_mov_b64 s[60:61], 0                                      // 000000017798: BEBC0180
	v_readlane_b32 s82, v3, 4                                  // 00000001779C: D2890052 00010903
	s_and_b32 s82, s82, 0xffffff                               // 0000000177A4: 8652FF52 00FFFFFF
	s_cmp_lt_u32 s82, s66                                      // 0000000177AC: BF0A4252
	s_cselect_b32 s20, s36, s60                                // 0000000177B0: 85143C24
	v_readlane_b32 s82, v3, 5                                  // 0000000177B4: D2890052 00010B03
	s_and_b32 s82, s82, 0xffffff                               // 0000000177BC: 8652FF52 00FFFFFF
	s_cmp_lt_u32 s82, s66                                      // 0000000177C4: BF0A4252
	s_cselect_b32 s21, s36, s60                                // 0000000177C8: 85153C24
	s_mov_b64 exec, s[20:21]                                   // 0000000177CC: BEFE0114
	global_atomic_add_f32 v6, v184, s[8:9]                     // 0000000177D0: DD348000 0008B806
	global_atomic_add_f32 v6, v188, s[8:9] offset:256          // 0000000177D8: DD348100 0008BC06
	global_atomic_add_f32 v6, v192, s[8:9] offset:512          // 0000000177E0: DD348200 0008C006
	global_atomic_add_f32 v6, v196, s[8:9] offset:768          // 0000000177E8: DD348300 0008C406
	global_atomic_add_f32 v6, v200, s[8:9] offset:1024         // 0000000177F0: DD348400 0008C806
	global_atomic_add_f32 v6, v204, s[8:9] offset:1280         // 0000000177F8: DD348500 0008CC06
	global_atomic_add_f32 v6, v208, s[8:9] offset:1536         // 000000017800: DD348600 0008D006
	global_atomic_add_f32 v6, v212, s[8:9] offset:1792         // 000000017808: DD348700 0008D406
	s_mov_b64 exec, s[36:37]                                   // 000000017810: BEFE0124
	v_mov_b32_e32 v6, v45                                      // 000000017814: 7E0C032D
	s_mov_b64 s[60:61], 0                                      // 000000017818: BEBC0180
	v_readlane_b32 s82, v3, 6                                  // 00000001781C: D2890052 00010D03
	s_and_b32 s82, s82, 0xffffff                               // 000000017824: 8652FF52 00FFFFFF
	s_cmp_lt_u32 s82, s66                                      // 00000001782C: BF0A4252
	s_cselect_b32 s20, s36, s60                                // 000000017830: 85143C24
	v_readlane_b32 s82, v3, 7                                  // 000000017834: D2890052 00010F03
	s_and_b32 s82, s82, 0xffffff                               // 00000001783C: 8652FF52 00FFFFFF
	s_cmp_lt_u32 s82, s66                                      // 000000017844: BF0A4252
	s_cselect_b32 s21, s36, s60                                // 000000017848: 85153C24
	s_mov_b64 exec, s[20:21]                                   // 00000001784C: BEFE0114
	global_atomic_add_f32 v6, v185, s[8:9]                     // 000000017850: DD348000 0008B906
	global_atomic_add_f32 v6, v189, s[8:9] offset:256          // 000000017858: DD348100 0008BD06
	global_atomic_add_f32 v6, v193, s[8:9] offset:512          // 000000017860: DD348200 0008C106
	global_atomic_add_f32 v6, v197, s[8:9] offset:768          // 000000017868: DD348300 0008C506
	global_atomic_add_f32 v6, v201, s[8:9] offset:1024         // 000000017870: DD348400 0008C906
	global_atomic_add_f32 v6, v205, s[8:9] offset:1280         // 000000017878: DD348500 0008CD06
	global_atomic_add_f32 v6, v209, s[8:9] offset:1536         // 000000017880: DD348600 0008D106
	global_atomic_add_f32 v6, v213, s[8:9] offset:1792         // 000000017888: DD348700 0008D506
	s_mov_b64 exec, s[36:37]                                   // 000000017890: BEFE0124
	v_mov_b32_e32 v6, v46                                      // 000000017894: 7E0C032E
	s_mov_b64 s[60:61], 0                                      // 000000017898: BEBC0180
	v_readlane_b32 s82, v3, 8                                  // 00000001789C: D2890052 00011103
	s_and_b32 s82, s82, 0xffffff                               // 0000000178A4: 8652FF52 00FFFFFF
	s_cmp_lt_u32 s82, s66                                      // 0000000178AC: BF0A4252
	s_cselect_b32 s20, s36, s60                                // 0000000178B0: 85143C24
	v_readlane_b32 s82, v3, 9                                  // 0000000178B4: D2890052 00011303
	s_and_b32 s82, s82, 0xffffff                               // 0000000178BC: 8652FF52 00FFFFFF
	s_cmp_lt_u32 s82, s66                                      // 0000000178C4: BF0A4252
	s_cselect_b32 s21, s36, s60                                // 0000000178C8: 85153C24
	s_mov_b64 exec, s[20:21]                                   // 0000000178CC: BEFE0114
	global_atomic_add_f32 v6, v216, s[8:9]                     // 0000000178D0: DD348000 0008D806
	global_atomic_add_f32 v6, v220, s[8:9] offset:256          // 0000000178D8: DD348100 0008DC06
	global_atomic_add_f32 v6, v224, s[8:9] offset:512          // 0000000178E0: DD348200 0008E006
	global_atomic_add_f32 v6, v228, s[8:9] offset:768          // 0000000178E8: DD348300 0008E406
	global_atomic_add_f32 v6, v232, s[8:9] offset:1024         // 0000000178F0: DD348400 0008E806
	global_atomic_add_f32 v6, v236, s[8:9] offset:1280         // 0000000178F8: DD348500 0008EC06
	global_atomic_add_f32 v6, v240, s[8:9] offset:1536         // 000000017900: DD348600 0008F006
	global_atomic_add_f32 v6, v244, s[8:9] offset:1792         // 000000017908: DD348700 0008F406
	s_mov_b64 exec, s[36:37]                                   // 000000017910: BEFE0124
	v_mov_b32_e32 v6, v47                                      // 000000017914: 7E0C032F
	s_mov_b64 s[60:61], 0                                      // 000000017918: BEBC0180
	v_readlane_b32 s82, v3, 10                                 // 00000001791C: D2890052 00011503
	s_and_b32 s82, s82, 0xffffff                               // 000000017924: 8652FF52 00FFFFFF
	s_cmp_lt_u32 s82, s66                                      // 00000001792C: BF0A4252
	s_cselect_b32 s20, s36, s60                                // 000000017930: 85143C24
	v_readlane_b32 s82, v3, 11                                 // 000000017934: D2890052 00011703
	s_and_b32 s82, s82, 0xffffff                               // 00000001793C: 8652FF52 00FFFFFF
	s_cmp_lt_u32 s82, s66                                      // 000000017944: BF0A4252
	s_cselect_b32 s21, s36, s60                                // 000000017948: 85153C24
	s_mov_b64 exec, s[20:21]                                   // 00000001794C: BEFE0114
	global_atomic_add_f32 v6, v217, s[8:9]                     // 000000017950: DD348000 0008D906
	global_atomic_add_f32 v6, v221, s[8:9] offset:256          // 000000017958: DD348100 0008DD06
	global_atomic_add_f32 v6, v225, s[8:9] offset:512          // 000000017960: DD348200 0008E106
	global_atomic_add_f32 v6, v229, s[8:9] offset:768          // 000000017968: DD348300 0008E506
	global_atomic_add_f32 v6, v233, s[8:9] offset:1024         // 000000017970: DD348400 0008E906
	global_atomic_add_f32 v6, v237, s[8:9] offset:1280         // 000000017978: DD348500 0008ED06
	global_atomic_add_f32 v6, v241, s[8:9] offset:1536         // 000000017980: DD348600 0008F106
	global_atomic_add_f32 v6, v245, s[8:9] offset:1792         // 000000017988: DD348700 0008F506
	s_mov_b64 exec, s[36:37]                                   // 000000017990: BEFE0124
	ds_write_b64 v20, v[154:155]                               // 000000017994: D89A0000 00009A14
	ds_write_b64 v20, v[158:159] offset:17408                  // 00000001799C: D89A4400 00009E14
	ds_write_b64 v20, v[162:163] offset:34816                  // 0000000179A4: D89A8800 0000A214
	ds_write_b64 v20, v[166:167] offset:2176                   // 0000000179AC: D89A0880 0000A614
	ds_write_b64 v20, v[170:171] offset:19584                  // 0000000179B4: D89A4C80 0000AA14
	ds_write_b64 v20, v[174:175] offset:36992                  // 0000000179BC: D89A9080 0000AE14
	ds_write_b64 v20, v[178:179] offset:4352                   // 0000000179C4: D89A1100 0000B214
	ds_write_b64 v20, v[182:183] offset:21760                  // 0000000179CC: D89A5500 0000B614
	ds_write_b64 v20, v[186:187] offset:39168                  // 0000000179D4: D89A9900 0000BA14
	ds_write_b64 v20, v[190:191] offset:6528                   // 0000000179DC: D89A1980 0000BE14
	ds_write_b64 v20, v[194:195] offset:23936                  // 0000000179E4: D89A5D80 0000C214
	ds_write_b64 v20, v[198:199] offset:41344                  // 0000000179EC: D89AA180 0000C614
	ds_write_b64 v20, v[202:203] offset:8704                   // 0000000179F4: D89A2200 0000CA14
	ds_write_b64 v20, v[206:207] offset:26112                  // 0000000179FC: D89A6600 0000CE14
	ds_write_b64 v20, v[210:211] offset:43520                  // 000000017A04: D89AAA00 0000D214
	ds_write_b64 v20, v[214:215] offset:10880                  // 000000017A0C: D89A2A80 0000D614
	ds_write_b64 v20, v[218:219] offset:28288                  // 000000017A14: D89A6E80 0000DA14
	ds_write_b64 v20, v[222:223] offset:45696                  // 000000017A1C: D89AB280 0000DE14
	ds_write_b64 v20, v[226:227] offset:13056                  // 000000017A24: D89A3300 0000E214
	ds_write_b64 v20, v[230:231] offset:30464                  // 000000017A2C: D89A7700 0000E614
	ds_write_b64 v20, v[234:235] offset:47872                  // 000000017A34: D89ABB00 0000EA14
	ds_write_b64 v20, v[238:239] offset:15232                  // 000000017A3C: D89A3B80 0000EE14
	ds_write_b64 v20, v[242:243] offset:32640                  // 000000017A44: D89A7F80 0000F214
	ds_write_b64 v20, v[246:247] offset:50048                  // 000000017A4C: D89AC380 0000F614
	s_waitcnt lgkmcnt(0)                                       // 000000017A54: BF8CC07F
	s_barrier                                                  // 000000017A58: BF8A0000
	ds_read_b32 v154, v21                                      // 000000017A5C: D86C0000 9A000015
	ds_read_b32 v155, v21 offset:64                            // 000000017A64: D86C0040 9B000015
	ds_read_b32 v158, v21 offset:2176                          // 000000017A6C: D86C0880 9E000015
	ds_read_b32 v159, v21 offset:2240                          // 000000017A74: D86C08C0 9F000015
	ds_read_b32 v162, v21 offset:4352                          // 000000017A7C: D86C1100 A2000015
	ds_read_b32 v163, v21 offset:4416                          // 000000017A84: D86C1140 A3000015
	ds_read_b32 v166, v21 offset:6528                          // 000000017A8C: D86C1980 A6000015
	ds_read_b32 v167, v21 offset:6592                          // 000000017A94: D86C19C0 A7000015
	ds_read_b32 v170, v21 offset:8704                          // 000000017A9C: D86C2200 AA000015
	ds_read_b32 v171, v21 offset:8768                          // 000000017AA4: D86C2240 AB000015
	ds_read_b32 v174, v21 offset:10880                         // 000000017AAC: D86C2A80 AE000015
	ds_read_b32 v175, v21 offset:10944                         // 000000017AB4: D86C2AC0 AF000015
	ds_read_b32 v178, v21 offset:13056                         // 000000017ABC: D86C3300 B2000015
	ds_read_b32 v179, v21 offset:13120                         // 000000017AC4: D86C3340 B3000015
	ds_read_b32 v182, v21 offset:15232                         // 000000017ACC: D86C3B80 B6000015
	ds_read_b32 v183, v21 offset:15296                         // 000000017AD4: D86C3BC0 B7000015
	ds_read_b32 v186, v21 offset:17408                         // 000000017ADC: D86C4400 BA000015
	ds_read_b32 v187, v21 offset:17472                         // 000000017AE4: D86C4440 BB000015
	ds_read_b32 v190, v21 offset:19584                         // 000000017AEC: D86C4C80 BE000015
	ds_read_b32 v191, v21 offset:19648                         // 000000017AF4: D86C4CC0 BF000015
	ds_read_b32 v194, v21 offset:21760                         // 000000017AFC: D86C5500 C2000015
	ds_read_b32 v195, v21 offset:21824                         // 000000017B04: D86C5540 C3000015
	ds_read_b32 v198, v21 offset:23936                         // 000000017B0C: D86C5D80 C6000015
	ds_read_b32 v199, v21 offset:24000                         // 000000017B14: D86C5DC0 C7000015
	ds_read_b32 v202, v21 offset:26112                         // 000000017B1C: D86C6600 CA000015
	ds_read_b32 v203, v21 offset:26176                         // 000000017B24: D86C6640 CB000015
	ds_read_b32 v206, v21 offset:28288                         // 000000017B2C: D86C6E80 CE000015
	ds_read_b32 v207, v21 offset:28352                         // 000000017B34: D86C6EC0 CF000015
	ds_read_b32 v210, v21 offset:30464                         // 000000017B3C: D86C7700 D2000015
	ds_read_b32 v211, v21 offset:30528                         // 000000017B44: D86C7740 D3000015
	ds_read_b32 v214, v21 offset:32640                         // 000000017B4C: D86C7F80 D6000015
	ds_read_b32 v215, v21 offset:32704                         // 000000017B54: D86C7FC0 D7000015
	ds_read_b32 v218, v21 offset:34816                         // 000000017B5C: D86C8800 DA000015
	ds_read_b32 v219, v21 offset:34880                         // 000000017B64: D86C8840 DB000015
	ds_read_b32 v222, v21 offset:36992                         // 000000017B6C: D86C9080 DE000015
	ds_read_b32 v223, v21 offset:37056                         // 000000017B74: D86C90C0 DF000015
	ds_read_b32 v226, v21 offset:39168                         // 000000017B7C: D86C9900 E2000015
	ds_read_b32 v227, v21 offset:39232                         // 000000017B84: D86C9940 E3000015
	ds_read_b32 v230, v21 offset:41344                         // 000000017B8C: D86CA180 E6000015
	ds_read_b32 v231, v21 offset:41408                         // 000000017B94: D86CA1C0 E7000015
	ds_read_b32 v234, v21 offset:43520                         // 000000017B9C: D86CAA00 EA000015
	ds_read_b32 v235, v21 offset:43584                         // 000000017BA4: D86CAA40 EB000015
	ds_read_b32 v238, v21 offset:45696                         // 000000017BAC: D86CB280 EE000015
	ds_read_b32 v239, v21 offset:45760                         // 000000017BB4: D86CB2C0 EF000015
	ds_read_b32 v242, v21 offset:47872                         // 000000017BBC: D86CBB00 F2000015
	ds_read_b32 v243, v21 offset:47936                         // 000000017BC4: D86CBB40 F3000015
	ds_read_b32 v246, v21 offset:50048                         // 000000017BCC: D86CC380 F6000015
	ds_read_b32 v247, v21 offset:50112                         // 000000017BD4: D86CC3C0 F7000015
	s_waitcnt lgkmcnt(0)                                       // 000000017BDC: BF8CC07F
	v_mov_b32_e32 v7, 0                                        // 000000017BE0: 7E0E0280
	s_mov_b64 exec, s[36:37]                                   // 000000017BE4: BEFE0124
	v_mov_b32_e32 v6, v42                                      // 000000017BE8: 7E0C032A
	s_mov_b64 s[60:61], 0                                      // 000000017BEC: BEBC0180
	v_readlane_b32 s82, v3, 0                                  // 000000017BF0: D2890052 00010103
	s_and_b32 s82, s82, 0xffffff                               // 000000017BF8: 8652FF52 00FFFFFF
	s_cmp_lt_u32 s82, s66                                      // 000000017C00: BF0A4252
	s_cselect_b32 s20, s36, s60                                // 000000017C04: 85143C24
	v_readlane_b32 s82, v3, 1                                  // 000000017C08: D2890052 00010303
	s_and_b32 s82, s82, 0xffffff                               // 000000017C10: 8652FF52 00FFFFFF
	s_cmp_lt_u32 s82, s66                                      // 000000017C18: BF0A4252
	s_cselect_b32 s21, s36, s60                                // 000000017C1C: 85153C24
	s_mov_b64 exec, s[20:21]                                   // 000000017C20: BEFE0114
	global_atomic_add_f32 v6, v154, s[8:9] offset:8            // 000000017C24: DD348008 00089A06
	global_atomic_add_f32 v6, v158, s[8:9] offset:264          // 000000017C2C: DD348108 00089E06
	global_atomic_add_f32 v6, v162, s[8:9] offset:520          // 000000017C34: DD348208 0008A206
	global_atomic_add_f32 v6, v166, s[8:9] offset:776          // 000000017C3C: DD348308 0008A606
	global_atomic_add_f32 v6, v170, s[8:9] offset:1032         // 000000017C44: DD348408 0008AA06
	global_atomic_add_f32 v6, v174, s[8:9] offset:1288         // 000000017C4C: DD348508 0008AE06
	global_atomic_add_f32 v6, v178, s[8:9] offset:1544         // 000000017C54: DD348608 0008B206
	global_atomic_add_f32 v6, v182, s[8:9] offset:1800         // 000000017C5C: DD348708 0008B606
	s_mov_b64 exec, s[36:37]                                   // 000000017C64: BEFE0124
	v_mov_b32_e32 v6, v43                                      // 000000017C68: 7E0C032B
	s_mov_b64 s[60:61], 0                                      // 000000017C6C: BEBC0180
	v_readlane_b32 s82, v3, 2                                  // 000000017C70: D2890052 00010503
	s_and_b32 s82, s82, 0xffffff                               // 000000017C78: 8652FF52 00FFFFFF
	s_cmp_lt_u32 s82, s66                                      // 000000017C80: BF0A4252
	s_cselect_b32 s20, s36, s60                                // 000000017C84: 85143C24
	v_readlane_b32 s82, v3, 3                                  // 000000017C88: D2890052 00010703
	s_and_b32 s82, s82, 0xffffff                               // 000000017C90: 8652FF52 00FFFFFF
	s_cmp_lt_u32 s82, s66                                      // 000000017C98: BF0A4252
	s_cselect_b32 s21, s36, s60                                // 000000017C9C: 85153C24
	s_mov_b64 exec, s[20:21]                                   // 000000017CA0: BEFE0114
	global_atomic_add_f32 v6, v155, s[8:9] offset:8            // 000000017CA4: DD348008 00089B06
	global_atomic_add_f32 v6, v159, s[8:9] offset:264          // 000000017CAC: DD348108 00089F06
	global_atomic_add_f32 v6, v163, s[8:9] offset:520          // 000000017CB4: DD348208 0008A306
	global_atomic_add_f32 v6, v167, s[8:9] offset:776          // 000000017CBC: DD348308 0008A706
	global_atomic_add_f32 v6, v171, s[8:9] offset:1032         // 000000017CC4: DD348408 0008AB06
	global_atomic_add_f32 v6, v175, s[8:9] offset:1288         // 000000017CCC: DD348508 0008AF06
	global_atomic_add_f32 v6, v179, s[8:9] offset:1544         // 000000017CD4: DD348608 0008B306
	global_atomic_add_f32 v6, v183, s[8:9] offset:1800         // 000000017CDC: DD348708 0008B706
	s_mov_b64 exec, s[36:37]                                   // 000000017CE4: BEFE0124
	v_mov_b32_e32 v6, v44                                      // 000000017CE8: 7E0C032C
	s_mov_b64 s[60:61], 0                                      // 000000017CEC: BEBC0180
	v_readlane_b32 s82, v3, 4                                  // 000000017CF0: D2890052 00010903
	s_and_b32 s82, s82, 0xffffff                               // 000000017CF8: 8652FF52 00FFFFFF
	s_cmp_lt_u32 s82, s66                                      // 000000017D00: BF0A4252
	s_cselect_b32 s20, s36, s60                                // 000000017D04: 85143C24
	v_readlane_b32 s82, v3, 5                                  // 000000017D08: D2890052 00010B03
	s_and_b32 s82, s82, 0xffffff                               // 000000017D10: 8652FF52 00FFFFFF
	s_cmp_lt_u32 s82, s66                                      // 000000017D18: BF0A4252
	s_cselect_b32 s21, s36, s60                                // 000000017D1C: 85153C24
	s_mov_b64 exec, s[20:21]                                   // 000000017D20: BEFE0114
	global_atomic_add_f32 v6, v186, s[8:9] offset:8            // 000000017D24: DD348008 0008BA06
	global_atomic_add_f32 v6, v190, s[8:9] offset:264          // 000000017D2C: DD348108 0008BE06
	global_atomic_add_f32 v6, v194, s[8:9] offset:520          // 000000017D34: DD348208 0008C206
	global_atomic_add_f32 v6, v198, s[8:9] offset:776          // 000000017D3C: DD348308 0008C606
	global_atomic_add_f32 v6, v202, s[8:9] offset:1032         // 000000017D44: DD348408 0008CA06
	global_atomic_add_f32 v6, v206, s[8:9] offset:1288         // 000000017D4C: DD348508 0008CE06
	global_atomic_add_f32 v6, v210, s[8:9] offset:1544         // 000000017D54: DD348608 0008D206
	global_atomic_add_f32 v6, v214, s[8:9] offset:1800         // 000000017D5C: DD348708 0008D606
	s_mov_b64 exec, s[36:37]                                   // 000000017D64: BEFE0124
	v_mov_b32_e32 v6, v45                                      // 000000017D68: 7E0C032D
	s_mov_b64 s[60:61], 0                                      // 000000017D6C: BEBC0180
	v_readlane_b32 s82, v3, 6                                  // 000000017D70: D2890052 00010D03
	s_and_b32 s82, s82, 0xffffff                               // 000000017D78: 8652FF52 00FFFFFF
	s_cmp_lt_u32 s82, s66                                      // 000000017D80: BF0A4252
	s_cselect_b32 s20, s36, s60                                // 000000017D84: 85143C24
	v_readlane_b32 s82, v3, 7                                  // 000000017D88: D2890052 00010F03
	s_and_b32 s82, s82, 0xffffff                               // 000000017D90: 8652FF52 00FFFFFF
	s_cmp_lt_u32 s82, s66                                      // 000000017D98: BF0A4252
	s_cselect_b32 s21, s36, s60                                // 000000017D9C: 85153C24
	s_mov_b64 exec, s[20:21]                                   // 000000017DA0: BEFE0114
	global_atomic_add_f32 v6, v187, s[8:9] offset:8            // 000000017DA4: DD348008 0008BB06
	global_atomic_add_f32 v6, v191, s[8:9] offset:264          // 000000017DAC: DD348108 0008BF06
	global_atomic_add_f32 v6, v195, s[8:9] offset:520          // 000000017DB4: DD348208 0008C306
	global_atomic_add_f32 v6, v199, s[8:9] offset:776          // 000000017DBC: DD348308 0008C706
	global_atomic_add_f32 v6, v203, s[8:9] offset:1032         // 000000017DC4: DD348408 0008CB06
	global_atomic_add_f32 v6, v207, s[8:9] offset:1288         // 000000017DCC: DD348508 0008CF06
	global_atomic_add_f32 v6, v211, s[8:9] offset:1544         // 000000017DD4: DD348608 0008D306
	global_atomic_add_f32 v6, v215, s[8:9] offset:1800         // 000000017DDC: DD348708 0008D706
	s_mov_b64 exec, s[36:37]                                   // 000000017DE4: BEFE0124
	v_mov_b32_e32 v6, v46                                      // 000000017DE8: 7E0C032E
	s_mov_b64 s[60:61], 0                                      // 000000017DEC: BEBC0180
	v_readlane_b32 s82, v3, 8                                  // 000000017DF0: D2890052 00011103
	s_and_b32 s82, s82, 0xffffff                               // 000000017DF8: 8652FF52 00FFFFFF
	s_cmp_lt_u32 s82, s66                                      // 000000017E00: BF0A4252
	s_cselect_b32 s20, s36, s60                                // 000000017E04: 85143C24
	v_readlane_b32 s82, v3, 9                                  // 000000017E08: D2890052 00011303
	s_and_b32 s82, s82, 0xffffff                               // 000000017E10: 8652FF52 00FFFFFF
	s_cmp_lt_u32 s82, s66                                      // 000000017E18: BF0A4252
	s_cselect_b32 s21, s36, s60                                // 000000017E1C: 85153C24
	s_mov_b64 exec, s[20:21]                                   // 000000017E20: BEFE0114
	global_atomic_add_f32 v6, v218, s[8:9] offset:8            // 000000017E24: DD348008 0008DA06
	global_atomic_add_f32 v6, v222, s[8:9] offset:264          // 000000017E2C: DD348108 0008DE06
	global_atomic_add_f32 v6, v226, s[8:9] offset:520          // 000000017E34: DD348208 0008E206
	global_atomic_add_f32 v6, v230, s[8:9] offset:776          // 000000017E3C: DD348308 0008E606
	global_atomic_add_f32 v6, v234, s[8:9] offset:1032         // 000000017E44: DD348408 0008EA06
	global_atomic_add_f32 v6, v238, s[8:9] offset:1288         // 000000017E4C: DD348508 0008EE06
	global_atomic_add_f32 v6, v242, s[8:9] offset:1544         // 000000017E54: DD348608 0008F206
	global_atomic_add_f32 v6, v246, s[8:9] offset:1800         // 000000017E5C: DD348708 0008F606
	s_mov_b64 exec, s[36:37]                                   // 000000017E64: BEFE0124
	v_mov_b32_e32 v6, v47                                      // 000000017E68: 7E0C032F
	s_mov_b64 s[60:61], 0                                      // 000000017E6C: BEBC0180
	v_readlane_b32 s82, v3, 10                                 // 000000017E70: D2890052 00011503
	s_and_b32 s82, s82, 0xffffff                               // 000000017E78: 8652FF52 00FFFFFF
	s_cmp_lt_u32 s82, s66                                      // 000000017E80: BF0A4252
	s_cselect_b32 s20, s36, s60                                // 000000017E84: 85143C24
	v_readlane_b32 s82, v3, 11                                 // 000000017E88: D2890052 00011703
	s_and_b32 s82, s82, 0xffffff                               // 000000017E90: 8652FF52 00FFFFFF
	s_cmp_lt_u32 s82, s66                                      // 000000017E98: BF0A4252
	s_cselect_b32 s21, s36, s60                                // 000000017E9C: 85153C24
	s_mov_b64 exec, s[20:21]                                   // 000000017EA0: BEFE0114
	global_atomic_add_f32 v6, v219, s[8:9] offset:8            // 000000017EA4: DD348008 0008DB06
	global_atomic_add_f32 v6, v223, s[8:9] offset:264          // 000000017EAC: DD348108 0008DF06
	global_atomic_add_f32 v6, v227, s[8:9] offset:520          // 000000017EB4: DD348208 0008E306
	global_atomic_add_f32 v6, v231, s[8:9] offset:776          // 000000017EBC: DD348308 0008E706
	global_atomic_add_f32 v6, v235, s[8:9] offset:1032         // 000000017EC4: DD348408 0008EB06
	global_atomic_add_f32 v6, v239, s[8:9] offset:1288         // 000000017ECC: DD348508 0008EF06
	global_atomic_add_f32 v6, v243, s[8:9] offset:1544         // 000000017ED4: DD348608 0008F306
	global_atomic_add_f32 v6, v247, s[8:9] offset:1800         // 000000017EDC: DD348708 0008F706
	s_mov_b64 exec, s[36:37]                                   // 000000017EE4: BEFE0124
	s_branch label_553E                                        // 000000017EE8: BF820000

0000000000017eec <label_553E>:
	s_waitcnt vmcnt(0) expcnt(0) lgkmcnt(0)                    // 000000017EEC: BF8C0000
	s_endpgm                                                   // 000000017EF0: BF810000
